;; amdgpu-corpus repo=ROCm/rocFFT kind=compiled arch=gfx950 opt=O3
	.text
	.amdgcn_target "amdgcn-amd-amdhsa--gfx950"
	.amdhsa_code_object_version 6
	.protected	fft_rtc_fwd_len3645_factors_5_3_3_3_3_3_3_wgs_243_tpt_243_halfLds_sp_ip_CI_sbrr_dirReg ; -- Begin function fft_rtc_fwd_len3645_factors_5_3_3_3_3_3_3_wgs_243_tpt_243_halfLds_sp_ip_CI_sbrr_dirReg
	.globl	fft_rtc_fwd_len3645_factors_5_3_3_3_3_3_3_wgs_243_tpt_243_halfLds_sp_ip_CI_sbrr_dirReg
	.p2align	8
	.type	fft_rtc_fwd_len3645_factors_5_3_3_3_3_3_3_wgs_243_tpt_243_halfLds_sp_ip_CI_sbrr_dirReg,@function
fft_rtc_fwd_len3645_factors_5_3_3_3_3_3_3_wgs_243_tpt_243_halfLds_sp_ip_CI_sbrr_dirReg: ; @fft_rtc_fwd_len3645_factors_5_3_3_3_3_3_3_wgs_243_tpt_243_halfLds_sp_ip_CI_sbrr_dirReg
; %bb.0:
	s_load_dwordx2 s[12:13], s[0:1], 0x18
	s_load_dwordx4 s[4:7], s[0:1], 0x0
	s_load_dwordx2 s[10:11], s[0:1], 0x50
	v_mul_u32_u24_e32 v1, 0x10e, v0
	v_add_u32_sdwa v6, s2, v1 dst_sel:DWORD dst_unused:UNUSED_PAD src0_sel:DWORD src1_sel:WORD_1
	s_waitcnt lgkmcnt(0)
	s_load_dwordx2 s[8:9], s[12:13], 0x0
	v_mov_b32_e32 v4, 0
	v_cmp_lt_u64_e64 s[2:3], s[6:7], 2
	v_mov_b32_e32 v7, v4
	s_and_b64 vcc, exec, s[2:3]
	v_mov_b64_e32 v[2:3], 0
	s_cbranch_vccnz .LBB0_8
; %bb.1:
	s_load_dwordx2 s[2:3], s[0:1], 0x10
	s_add_u32 s14, s12, 8
	s_addc_u32 s15, s13, 0
	s_mov_b64 s[16:17], 1
	v_mov_b64_e32 v[2:3], 0
	s_waitcnt lgkmcnt(0)
	s_add_u32 s18, s2, 8
	s_addc_u32 s19, s3, 0
.LBB0_2:                                ; =>This Inner Loop Header: Depth=1
	s_load_dwordx2 s[20:21], s[18:19], 0x0
                                        ; implicit-def: $vgpr8_vgpr9
	s_waitcnt lgkmcnt(0)
	v_or_b32_e32 v5, s21, v7
	v_cmp_ne_u64_e32 vcc, 0, v[4:5]
	s_and_saveexec_b64 s[2:3], vcc
	s_xor_b64 s[22:23], exec, s[2:3]
	s_cbranch_execz .LBB0_4
; %bb.3:                                ;   in Loop: Header=BB0_2 Depth=1
	v_cvt_f32_u32_e32 v1, s20
	v_cvt_f32_u32_e32 v5, s21
	s_sub_u32 s2, 0, s20
	s_subb_u32 s3, 0, s21
	v_fmac_f32_e32 v1, 0x4f800000, v5
	v_rcp_f32_e32 v1, v1
	s_nop 0
	v_mul_f32_e32 v1, 0x5f7ffffc, v1
	v_mul_f32_e32 v5, 0x2f800000, v1
	v_trunc_f32_e32 v5, v5
	v_fmac_f32_e32 v1, 0xcf800000, v5
	v_cvt_u32_f32_e32 v5, v5
	v_cvt_u32_f32_e32 v1, v1
	v_mul_lo_u32 v8, s2, v5
	v_mul_hi_u32 v10, s2, v1
	v_mul_lo_u32 v9, s3, v1
	v_add_u32_e32 v10, v10, v8
	v_mul_lo_u32 v12, s2, v1
	v_add_u32_e32 v13, v10, v9
	v_mul_hi_u32 v8, v1, v12
	v_mul_hi_u32 v11, v1, v13
	v_mul_lo_u32 v10, v1, v13
	v_mov_b32_e32 v9, v4
	v_lshl_add_u64 v[8:9], v[8:9], 0, v[10:11]
	v_mul_hi_u32 v11, v5, v12
	v_mul_lo_u32 v12, v5, v12
	v_add_co_u32_e32 v8, vcc, v8, v12
	v_mul_hi_u32 v10, v5, v13
	s_nop 0
	v_addc_co_u32_e32 v8, vcc, v9, v11, vcc
	v_mov_b32_e32 v9, v4
	s_nop 0
	v_addc_co_u32_e32 v11, vcc, 0, v10, vcc
	v_mul_lo_u32 v10, v5, v13
	v_lshl_add_u64 v[8:9], v[8:9], 0, v[10:11]
	v_add_co_u32_e32 v1, vcc, v1, v8
	v_mul_lo_u32 v10, s2, v1
	s_nop 0
	v_addc_co_u32_e32 v5, vcc, v5, v9, vcc
	v_mul_lo_u32 v8, s2, v5
	v_mul_hi_u32 v9, s2, v1
	v_add_u32_e32 v8, v9, v8
	v_mul_lo_u32 v9, s3, v1
	v_add_u32_e32 v12, v8, v9
	v_mul_hi_u32 v14, v5, v10
	v_mul_lo_u32 v15, v5, v10
	v_mul_hi_u32 v9, v1, v12
	v_mul_lo_u32 v8, v1, v12
	v_mul_hi_u32 v10, v1, v10
	v_mov_b32_e32 v11, v4
	v_lshl_add_u64 v[8:9], v[10:11], 0, v[8:9]
	v_add_co_u32_e32 v8, vcc, v8, v15
	v_mul_hi_u32 v13, v5, v12
	s_nop 0
	v_addc_co_u32_e32 v8, vcc, v9, v14, vcc
	v_mul_lo_u32 v10, v5, v12
	s_nop 0
	v_addc_co_u32_e32 v11, vcc, 0, v13, vcc
	v_mov_b32_e32 v9, v4
	v_lshl_add_u64 v[8:9], v[8:9], 0, v[10:11]
	v_add_co_u32_e32 v1, vcc, v1, v8
	v_mul_hi_u32 v10, v6, v1
	s_nop 0
	v_addc_co_u32_e32 v5, vcc, v5, v9, vcc
	v_mad_u64_u32 v[8:9], s[2:3], v6, v5, 0
	v_mov_b32_e32 v11, v4
	v_lshl_add_u64 v[8:9], v[10:11], 0, v[8:9]
	v_mad_u64_u32 v[12:13], s[2:3], v7, v1, 0
	v_add_co_u32_e32 v1, vcc, v8, v12
	v_mad_u64_u32 v[10:11], s[2:3], v7, v5, 0
	s_nop 0
	v_addc_co_u32_e32 v8, vcc, v9, v13, vcc
	v_mov_b32_e32 v9, v4
	s_nop 0
	v_addc_co_u32_e32 v11, vcc, 0, v11, vcc
	v_lshl_add_u64 v[8:9], v[8:9], 0, v[10:11]
	v_mul_lo_u32 v1, s21, v8
	v_mul_lo_u32 v5, s20, v9
	v_mad_u64_u32 v[10:11], s[2:3], s20, v8, 0
	v_add3_u32 v1, v11, v5, v1
	v_sub_u32_e32 v5, v7, v1
	v_mov_b32_e32 v11, s21
	v_sub_co_u32_e32 v14, vcc, v6, v10
	v_lshl_add_u64 v[12:13], v[8:9], 0, 1
	s_nop 0
	v_subb_co_u32_e64 v5, s[2:3], v5, v11, vcc
	v_subrev_co_u32_e64 v10, s[2:3], s20, v14
	v_subb_co_u32_e32 v1, vcc, v7, v1, vcc
	s_nop 0
	v_subbrev_co_u32_e64 v5, s[2:3], 0, v5, s[2:3]
	v_cmp_le_u32_e64 s[2:3], s21, v5
	v_cmp_le_u32_e32 vcc, s21, v1
	s_nop 0
	v_cndmask_b32_e64 v11, 0, -1, s[2:3]
	v_cmp_le_u32_e64 s[2:3], s20, v10
	s_nop 1
	v_cndmask_b32_e64 v10, 0, -1, s[2:3]
	v_cmp_eq_u32_e64 s[2:3], s21, v5
	s_nop 1
	v_cndmask_b32_e64 v5, v11, v10, s[2:3]
	v_lshl_add_u64 v[10:11], v[8:9], 0, 2
	v_cmp_ne_u32_e64 s[2:3], 0, v5
	s_nop 1
	v_cndmask_b32_e64 v5, v13, v11, s[2:3]
	v_cndmask_b32_e64 v11, 0, -1, vcc
	v_cmp_le_u32_e32 vcc, s20, v14
	s_nop 1
	v_cndmask_b32_e64 v13, 0, -1, vcc
	v_cmp_eq_u32_e32 vcc, s21, v1
	s_nop 1
	v_cndmask_b32_e32 v1, v11, v13, vcc
	v_cmp_ne_u32_e32 vcc, 0, v1
	v_cndmask_b32_e64 v1, v12, v10, s[2:3]
	s_nop 0
	v_cndmask_b32_e32 v9, v9, v5, vcc
	v_cndmask_b32_e32 v8, v8, v1, vcc
.LBB0_4:                                ;   in Loop: Header=BB0_2 Depth=1
	s_andn2_saveexec_b64 s[2:3], s[22:23]
	s_cbranch_execz .LBB0_6
; %bb.5:                                ;   in Loop: Header=BB0_2 Depth=1
	v_cvt_f32_u32_e32 v1, s20
	s_sub_i32 s22, 0, s20
	v_rcp_iflag_f32_e32 v1, v1
	s_nop 0
	v_mul_f32_e32 v1, 0x4f7ffffe, v1
	v_cvt_u32_f32_e32 v1, v1
	v_mul_lo_u32 v5, s22, v1
	v_mul_hi_u32 v5, v1, v5
	v_add_u32_e32 v1, v1, v5
	v_mul_hi_u32 v1, v6, v1
	v_mul_lo_u32 v5, v1, s20
	v_sub_u32_e32 v5, v6, v5
	v_add_u32_e32 v8, 1, v1
	v_subrev_u32_e32 v9, s20, v5
	v_cmp_le_u32_e32 vcc, s20, v5
	s_nop 1
	v_cndmask_b32_e32 v5, v5, v9, vcc
	v_cndmask_b32_e32 v1, v1, v8, vcc
	v_add_u32_e32 v8, 1, v1
	v_cmp_le_u32_e32 vcc, s20, v5
	v_mov_b32_e32 v9, v4
	s_nop 0
	v_cndmask_b32_e32 v8, v1, v8, vcc
.LBB0_6:                                ;   in Loop: Header=BB0_2 Depth=1
	s_or_b64 exec, exec, s[2:3]
	v_mad_u64_u32 v[10:11], s[2:3], v8, s20, 0
	s_load_dwordx2 s[2:3], s[14:15], 0x0
	v_mul_lo_u32 v1, v9, s20
	v_mul_lo_u32 v5, v8, s21
	v_add3_u32 v1, v11, v5, v1
	v_sub_co_u32_e32 v5, vcc, v6, v10
	s_add_u32 s16, s16, 1
	s_nop 0
	v_subb_co_u32_e32 v1, vcc, v7, v1, vcc
	s_addc_u32 s17, s17, 0
	s_waitcnt lgkmcnt(0)
	v_mul_lo_u32 v1, s2, v1
	v_mul_lo_u32 v6, s3, v5
	v_mad_u64_u32 v[2:3], s[2:3], s2, v5, v[2:3]
	s_add_u32 s14, s14, 8
	v_add3_u32 v3, v6, v3, v1
	s_addc_u32 s15, s15, 0
	v_mov_b64_e32 v[6:7], s[6:7]
	s_add_u32 s18, s18, 8
	v_cmp_ge_u64_e32 vcc, s[16:17], v[6:7]
	s_addc_u32 s19, s19, 0
	s_cbranch_vccnz .LBB0_9
; %bb.7:                                ;   in Loop: Header=BB0_2 Depth=1
	v_mov_b64_e32 v[6:7], v[8:9]
	s_branch .LBB0_2
.LBB0_8:
	v_mov_b64_e32 v[8:9], v[6:7]
.LBB0_9:
	s_lshl_b64 s[2:3], s[6:7], 3
	s_add_u32 s2, s12, s2
	s_addc_u32 s3, s13, s3
	s_load_dwordx2 s[6:7], s[2:3], 0x0
	s_load_dwordx2 s[12:13], s[0:1], 0x20
	s_mov_b32 s2, 0x10db20b
                                        ; implicit-def: $vgpr59
                                        ; implicit-def: $vgpr60
	s_waitcnt lgkmcnt(0)
	v_mul_lo_u32 v1, s6, v9
	v_mul_lo_u32 v6, s7, v8
	v_mad_u64_u32 v[4:5], s[0:1], s6, v8, v[2:3]
	v_add3_u32 v5, v6, v5, v1
	v_mul_hi_u32 v1, v0, s2
	v_mul_u32_u24_e32 v1, 0xf3, v1
	v_cmp_gt_u64_e32 vcc, s[12:13], v[8:9]
	v_cmp_le_u64_e64 s[0:1], s[12:13], v[8:9]
	v_sub_u32_e32 v58, v0, v1
                                        ; implicit-def: $vgpr2_vgpr3
	s_and_saveexec_b64 s[2:3], s[0:1]
	s_xor_b64 s[0:1], exec, s[2:3]
; %bb.10:
	v_add_u32_e32 v59, 0xf3, v58
	v_add_u32_e32 v3, 0x1e6, v58
	v_add_u32_e32 v2, 0x2d9, v58
	v_add_u32_e32 v60, 0x3cc, v58
; %bb.11:
	s_or_saveexec_b64 s[0:1], s[0:1]
	v_lshl_add_u64 v[0:1], v[4:5], 3, s[10:11]
                                        ; implicit-def: $vgpr22
                                        ; implicit-def: $vgpr26
                                        ; implicit-def: $vgpr34
                                        ; implicit-def: $vgpr48
                                        ; implicit-def: $vgpr50
                                        ; implicit-def: $vgpr56
                                        ; implicit-def: $vgpr6
                                        ; implicit-def: $vgpr8
                                        ; implicit-def: $vgpr10
                                        ; implicit-def: $vgpr14
                                        ; implicit-def: $vgpr18
                                        ; implicit-def: $vgpr20
                                        ; implicit-def: $vgpr4
                                        ; implicit-def: $vgpr12
                                        ; implicit-def: $vgpr16
                                        ; implicit-def: $vgpr52
                                        ; implicit-def: $vgpr38
                                        ; implicit-def: $vgpr24
	s_xor_b64 exec, exec, s[0:1]
	s_cbranch_execz .LBB0_13
; %bb.12:
	v_mad_u64_u32 v[2:3], s[2:3], s8, v58, 0
	v_mov_b32_e32 v4, v3
	v_mad_u64_u32 v[4:5], s[2:3], s9, v58, v[4:5]
	v_mov_b32_e32 v3, v4
	v_lshl_add_u64 v[6:7], v[2:3], 3, v[0:1]
	v_add_u32_e32 v2, 0x2d9, v58
	v_mad_u64_u32 v[4:5], s[2:3], s8, v2, 0
	v_mov_b32_e32 v8, v5
	v_mad_u64_u32 v[8:9], s[2:3], s9, v2, v[8:9]
	v_mov_b32_e32 v5, v8
	v_add_u32_e32 v11, 0x5b2, v58
	v_lshl_add_u64 v[8:9], v[4:5], 3, v[0:1]
	v_mad_u64_u32 v[4:5], s[2:3], s8, v11, 0
	v_mov_b32_e32 v10, v5
	v_mad_u64_u32 v[10:11], s[2:3], s9, v11, v[10:11]
	v_mov_b32_e32 v5, v10
	v_add_u32_e32 v13, 0x88b, v58
	v_lshl_add_u64 v[10:11], v[4:5], 3, v[0:1]
	;; [unrolled: 6-line block ×6, first 2 shown]
	v_mad_u64_u32 v[4:5], s[2:3], s8, v17, 0
	v_mov_b32_e32 v16, v5
	v_mad_u64_u32 v[16:17], s[2:3], s9, v17, v[16:17]
	v_add_u32_e32 v23, 0xc57, v58
	v_mov_b32_e32 v5, v16
	v_mad_u64_u32 v[16:17], s[2:3], s8, v23, 0
	v_mov_b32_e32 v22, v17
	v_add_u32_e32 v3, 0x1e6, v58
	v_mad_u64_u32 v[22:23], s[2:3], s9, v23, v[22:23]
	v_mov_b32_e32 v17, v22
	v_mad_u64_u32 v[22:23], s[2:3], s8, v3, 0
	v_mov_b32_e32 v24, v23
	v_mad_u64_u32 v[24:25], s[2:3], s9, v3, v[24:25]
	v_add_u32_e32 v27, 0x4bf, v58
	v_mov_b32_e32 v23, v24
	v_mad_u64_u32 v[24:25], s[2:3], s8, v27, 0
	v_mov_b32_e32 v26, v25
	v_mad_u64_u32 v[26:27], s[2:3], s9, v27, v[26:27]
	v_lshl_add_u64 v[4:5], v[4:5], 3, v[0:1]
	v_lshl_add_u64 v[16:17], v[16:17], 3, v[0:1]
	v_mov_b32_e32 v25, v26
	v_lshl_add_u64 v[22:23], v[22:23], 3, v[0:1]
	v_lshl_add_u64 v[24:25], v[24:25], 3, v[0:1]
	global_load_dwordx2 v[34:35], v[4:5], off
	global_load_dwordx2 v[38:39], v[16:17], off
	;; [unrolled: 1-line block ×4, first 2 shown]
	v_add_u32_e32 v17, 0x798, v58
	v_mad_u64_u32 v[4:5], s[2:3], s8, v17, 0
	v_mov_b32_e32 v16, v5
	v_mad_u64_u32 v[16:17], s[2:3], s9, v17, v[16:17]
	v_mov_b32_e32 v5, v16
	v_add_u32_e32 v17, 0xa71, v58
	v_lshl_add_u64 v[30:31], v[4:5], 3, v[0:1]
	v_mad_u64_u32 v[4:5], s[2:3], s8, v17, 0
	v_mov_b32_e32 v16, v5
	v_mad_u64_u32 v[16:17], s[2:3], s9, v17, v[16:17]
	v_mov_b32_e32 v5, v16
	v_add_u32_e32 v17, 0xd4a, v58
	v_lshl_add_u64 v[32:33], v[4:5], 3, v[0:1]
	v_mad_u64_u32 v[4:5], s[2:3], s8, v17, 0
	v_mov_b32_e32 v16, v5
	v_mad_u64_u32 v[16:17], s[2:3], s9, v17, v[16:17]
	v_mov_b32_e32 v5, v16
	v_lshl_add_u64 v[36:37], v[4:5], 3, v[0:1]
	global_load_dwordx2 v[4:5], v[30:31], off
	global_load_dwordx2 v[22:23], v[32:33], off
	;; [unrolled: 1-line block ×10, first 2 shown]
	v_add_u32_e32 v9, 0x6a5, v58
	v_mad_u64_u32 v[6:7], s[2:3], s8, v9, 0
	v_mov_b32_e32 v8, v7
	v_mad_u64_u32 v[8:9], s[2:3], s9, v9, v[8:9]
	v_mov_b32_e32 v7, v8
	v_lshl_add_u64 v[6:7], v[6:7], 3, v[0:1]
	global_load_dwordx2 v[12:13], v[6:7], off
	s_waitcnt vmcnt(14)
	v_mov_b32_e32 v15, v35
	s_waitcnt vmcnt(13)
	v_mov_b32_e32 v11, v39
	;; [unrolled: 2-line block ×11, first 2 shown]
	v_mov_b32_e32 v53, v42
	s_waitcnt vmcnt(1)
	v_mov_b32_e32 v21, v51
	v_mov_b32_e32 v39, v40
	v_mov_b32_e32 v25, v28
.LBB0_13:
	s_or_b64 exec, exec, s[0:1]
	s_mov_b32 s0, 0x3f737871
	s_mov_b32 s1, 0x3f167918
	v_add_f32_e32 v23, v21, v17
	v_mov_b32_e32 v28, v53
	v_mov_b32_e32 v29, v16
	;; [unrolled: 1-line block ×4, first 2 shown]
	v_fma_f32 v61, -0.5, v23, v20
	v_pk_add_f32 v[54:55], v[28:29], v[30:31] neg_lo:[0,1] neg_hi:[0,1]
	v_add_f32_e32 v23, v19, v18
	s_mov_b32 s2, s1
	s_mov_b32 s3, s0
	v_pk_add_f32 v[42:43], v[18:19], v[20:21]
	v_pk_add_f32 v[62:63], v[18:19], v[20:21] neg_lo:[0,1] neg_hi:[0,1]
	v_fmac_f32_e32 v20, -0.5, v23
	v_pk_mul_f32 v[28:29], v[54:55], s[2:3]
	v_mov_b32_e32 v36, v38
	v_add_f32_e32 v23, v29, v20
	v_sub_f32_e32 v20, v20, v29
	v_sub_f32_e32 v30, v23, v28
	v_add_f32_e32 v31, v28, v20
	s_waitcnt vmcnt(0)
	v_add_f32_e32 v20, v15, v13
	v_mov_b32_e32 v28, v39
	v_mov_b32_e32 v29, v12
	;; [unrolled: 1-line block ×3, first 2 shown]
	v_fma_f32 v72, -0.5, v20, v14
	v_pk_add_f32 v[44:45], v[28:29], v[36:37] neg_lo:[0,1] neg_hi:[0,1]
	v_add_f32_e32 v20, v11, v10
	v_pk_add_f32 v[32:33], v[10:11], v[14:15]
	v_pk_add_f32 v[64:65], v[10:11], v[14:15] neg_lo:[0,1] neg_hi:[0,1]
	v_fmac_f32_e32 v14, -0.5, v20
	v_pk_mul_f32 v[36:37], v[44:45], s[2:3]
	v_mov_b32_e32 v40, v24
	v_add_f32_e32 v20, v37, v14
	v_sub_f32_e32 v14, v14, v37
	v_sub_f32_e32 v28, v20, v36
	v_add_f32_e32 v29, v36, v14
	v_mov_b32_e32 v36, v25
	v_mov_b32_e32 v37, v4
	;; [unrolled: 1-line block ×3, first 2 shown]
	v_add_f32_e32 v14, v9, v5
	v_pk_add_f32 v[46:47], v[36:37], v[40:41] neg_lo:[0,1] neg_hi:[0,1]
	v_fma_f32 v73, -0.5, v14, v8
	v_add_f32_e32 v14, v7, v6
	v_pk_add_f32 v[40:41], v[6:7], v[8:9]
	v_pk_add_f32 v[66:67], v[6:7], v[8:9] neg_lo:[0,1] neg_hi:[0,1]
	v_fmac_f32_e32 v8, -0.5, v14
	v_pk_mul_f32 v[68:69], v[46:47], s[2:3]
	v_mov_b32_e32 v43, v63
	v_add_f32_e32 v14, v69, v8
	v_sub_f32_e32 v8, v8, v69
	v_add_f32_e32 v37, v68, v8
	v_add_f32_e32 v8, v50, v16
	v_mul_f32_e32 v63, 0.5, v8
	v_mov_b32_e32 v8, v53
	v_mov_b32_e32 v33, v65
	;; [unrolled: 1-line block ×3, first 2 shown]
	v_pk_add_f32 v[64:65], v[56:57], v[8:9] op_sel_hi:[1,0]
	v_add_f32_e32 v8, v52, v53
	v_mov_b32_e32 v41, v67
	v_pk_add_f32 v[62:63], v[56:57], v[62:63] op_sel_hi:[0,1] neg_lo:[0,1] neg_hi:[0,1]
	v_mov_b32_e32 v57, v56
	v_mov_b32_e32 v56, v18
	v_mul_f32_e32 v67, 0.5, v8
	v_mov_b32_e32 v66, v19
	v_sub_f32_e32 v36, v14, v68
	v_pk_add_f32 v[56:57], v[56:57], v[66:67] neg_lo:[0,1] neg_hi:[0,1]
	v_sub_f32_e32 v14, v17, v21
	v_pk_mul_f32 v[66:67], v[56:57], s[2:3]
	v_mul_f32_e32 v69, 0x3f737871, v14
	v_mov_b32_e32 v68, 0x3f167918
	v_mov_b32_e32 v67, v66
	v_fmamk_f32 v66, v14, 0xbf737871, v57
	v_pk_add_f32 v[70:71], v[56:57], v[68:69]
	v_mov_b32_e32 v51, v16
	v_pk_add_f32 v[70:71], v[70:71], v[66:67] neg_lo:[0,1] neg_hi:[0,1]
	v_pk_fma_f32 v[66:67], v[56:57], v[68:69], v[66:67]
	v_mov_b32_e32 v65, v63
	v_mov_b32_e32 v67, v71
	v_pk_add_f32 v[70:71], v[50:51], v[52:53] neg_lo:[0,1] neg_hi:[0,1]
	v_fmac_f32_e32 v63, 0xbf737871, v56
	v_add_f32_e32 v8, v70, v71
	v_mul_f32_e32 v8, 0x3e9e377a, v8
	v_mul_f32_e32 v71, 0x3f737871, v56
	v_mov_b32_e32 v70, v16
	v_pk_add_f32 v[66:67], v[8:9], v[66:67] op_sel_hi:[0,1]
	v_pk_add_f32 v[64:65], v[70:71], v[64:65]
	v_mul_f32_e32 v8, 0x3f167918, v14
	v_pk_add_f32 v[70:71], v[52:53], v[50:51] neg_lo:[0,1] neg_hi:[0,1]
	v_mov_b32_e32 v51, v8
	v_add_f32_e32 v8, v70, v71
	v_pk_add_f32 v[50:51], v[50:51], v[64:65]
	v_mul_f32_e32 v53, 0x3e9e377a, v8
	v_fmac_f32_e32 v63, 0xbf167918, v14
	v_pk_add_f32 v[50:51], v[52:53], v[50:51]
	v_mad_u32_u24 v70, v58, 20, 0
	v_fmac_f32_e32 v63, 0x3e9e377a, v8
	v_add_f32_e32 v8, v34, v12
	ds_write2_b32 v70, v50, v51 offset1:1
	ds_write2_b32 v70, v66, v67 offset0:2 offset1:3
	v_mul_f32_e32 v51, 0.5, v8
	v_mov_b32_e32 v8, v39
	v_mov_b32_e32 v50, v39
	v_pk_add_f32 v[52:53], v[48:49], v[8:9] op_sel_hi:[1,0]
	v_add_f32_e32 v8, v38, v39
	v_pk_add_f32 v[50:51], v[48:49], v[50:51] op_sel_hi:[0,1] neg_lo:[0,1] neg_hi:[0,1]
	v_mov_b32_e32 v49, v48
	v_mov_b32_e32 v48, v10
	v_mul_f32_e32 v57, 0.5, v8
	v_mov_b32_e32 v56, v11
	v_pk_add_f32 v[48:49], v[48:49], v[56:57] neg_lo:[0,1] neg_hi:[0,1]
	v_sub_f32_e32 v14, v13, v15
	v_mul_f32_e32 v69, 0x3f737871, v14
	v_pk_mul_f32 v[56:57], v[48:49], s[2:3]
	ds_write_b32 v70, v63 offset:16
	v_mov_b32_e32 v57, v56
	v_fmamk_f32 v56, v14, 0xbf737871, v49
	v_pk_add_f32 v[62:63], v[48:49], v[68:69]
	v_mov_b32_e32 v35, v12
	v_pk_add_f32 v[62:63], v[62:63], v[56:57] neg_lo:[0,1] neg_hi:[0,1]
	v_pk_fma_f32 v[56:57], v[48:49], v[68:69], v[56:57]
	v_mov_b32_e32 v53, v51
	v_mov_b32_e32 v57, v63
	v_pk_add_f32 v[62:63], v[34:35], v[38:39] neg_lo:[0,1] neg_hi:[0,1]
	v_fmac_f32_e32 v51, 0xbf737871, v48
	v_add_f32_e32 v8, v62, v63
	v_mul_f32_e32 v8, 0x3e9e377a, v8
	v_mul_f32_e32 v63, 0x3f737871, v48
	v_mov_b32_e32 v62, v12
	v_pk_add_f32 v[56:57], v[8:9], v[56:57] op_sel_hi:[0,1]
	v_pk_add_f32 v[52:53], v[62:63], v[52:53]
	v_mul_f32_e32 v8, 0x3f167918, v14
	v_pk_add_f32 v[62:63], v[38:39], v[34:35] neg_lo:[0,1] neg_hi:[0,1]
	v_mov_b32_e32 v35, v8
	v_add_f32_e32 v8, v62, v63
	v_pk_add_f32 v[34:35], v[34:35], v[52:53]
	v_mul_f32_e32 v39, 0x3e9e377a, v8
	v_pk_add_f32 v[34:35], v[38:39], v[34:35]
	v_mad_i32_i24 v38, v59, 20, 0
	v_fmac_f32_e32 v51, 0xbf167918, v14
	v_add_f32_e32 v14, v22, v4
	ds_write2_b32 v38, v34, v35 offset1:1
	v_fmac_f32_e32 v51, 0x3e9e377a, v8
	v_mul_f32_e32 v35, 0.5, v14
	v_mov_b32_e32 v8, v25
	v_add_f32_e32 v14, v24, v25
	v_mov_b32_e32 v34, v25
	ds_write_b32 v38, v51 offset:16
	v_mul_f32_e32 v49, 0.5, v14
	v_pk_add_f32 v[50:51], v[26:27], v[8:9] op_sel_hi:[1,0]
	v_pk_add_f32 v[34:35], v[26:27], v[34:35] op_sel_hi:[0,1] neg_lo:[0,1] neg_hi:[0,1]
	v_mov_b32_e32 v27, v26
	v_mov_b32_e32 v26, v6
	v_mov_b32_e32 v48, v7
	v_pk_add_f32 v[26:27], v[26:27], v[48:49] neg_lo:[0,1] neg_hi:[0,1]
	v_sub_f32_e32 v14, v5, v9
	v_mul_f32_e32 v69, 0x3f737871, v14
	v_pk_mul_f32 v[48:49], v[26:27], s[2:3]
	v_pk_add_f32 v[52:53], v[26:27], v[68:69]
	v_mov_b32_e32 v49, v48
	v_fmamk_f32 v48, v14, 0xbf737871, v27
	ds_write2_b32 v38, v56, v57 offset0:2 offset1:3
	v_pk_fma_f32 v[56:57], v[26:27], v[68:69], v[48:49]
	v_pk_add_f32 v[48:49], v[52:53], v[48:49] neg_lo:[0,1] neg_hi:[0,1]
	v_mov_b32_e32 v23, v4
	v_mov_b32_e32 v57, v49
	v_pk_add_f32 v[48:49], v[22:23], v[24:25] neg_lo:[0,1] neg_hi:[0,1]
	v_mov_b32_e32 v51, v35
	v_add_f32_e32 v8, v48, v49
	v_mul_f32_e32 v53, 0x3f737871, v26
	v_mov_b32_e32 v52, v4
	v_mul_f32_e32 v8, 0x3e9e377a, v8
	v_pk_add_f32 v[50:51], v[52:53], v[50:51]
	v_pk_mul_f32 v[52:53], v[54:55], s[0:1]
	v_pk_add_f32 v[48:49], v[8:9], v[56:57] op_sel_hi:[0,1]
	v_sub_f32_e32 v8, v61, v52
	v_add_f32_e32 v20, v52, v61
	v_pk_add_f32 v[54:55], v[24:25], v[22:23] neg_lo:[0,1] neg_hi:[0,1]
	v_add_f32_e32 v20, v53, v20
	v_sub_f32_e32 v53, v8, v53
	v_add_f32_e32 v8, v54, v55
	v_mul_f32_e32 v23, 0x3f167918, v14
	v_mov_b32_e32 v27, v18
	v_mul_f32_e32 v25, 0x3e9e377a, v8
	v_pk_add_f32 v[22:23], v[22:23], v[50:51]
	v_pk_add_f32 v[54:55], v[26:27], v[16:17] neg_lo:[0,1] neg_hi:[0,1]
	v_pk_add_f32 v[24:25], v[24:25], v[22:23]
	v_mov_b32_e32 v22, v17
	v_mov_b32_e32 v23, v21
	v_fmac_f32_e32 v35, 0xbf737871, v26
	v_mov_b32_e32 v54, v17
	s_mov_b32 s3, 0x3e9e377a
	v_pk_add_f32 v[56:57], v[22:23], v[18:19] neg_lo:[0,1] neg_hi:[0,1]
	v_fmac_f32_e32 v35, 0xbf167918, v14
	v_pk_add_f32 v[16:17], v[54:55], v[42:43]
	v_mov_b32_e32 v54, v21
	v_mov_b32_e32 v55, 0x3e9e377a
	v_mad_i32_i24 v23, v3, 20, 0
	v_fmac_f32_e32 v35, 0x3e9e377a, v8
	v_mov_b32_e32 v52, v19
	v_pk_add_f32 v[18:19], v[54:55], v[16:17]
	v_pk_mul_f32 v[16:17], v[16:17], s[2:3]
	v_add_f32_e32 v54, v57, v56
	ds_write2_b32 v23, v24, v25 offset1:1
	ds_write2_b32 v23, v48, v49 offset0:2 offset1:3
	ds_write_b32 v23, v35 offset:16
	v_lshlrev_b32_e32 v8, 4, v58
	v_lshlrev_b32_e32 v35, 4, v3
	v_mov_b32_e32 v19, v17
	v_mul_f32_e32 v54, 0x3e9e377a, v54
	v_sub_u32_e32 v39, v70, v8
	v_lshlrev_b32_e32 v25, 4, v59
	v_sub_u32_e32 v22, v23, v35
	v_pk_add_f32 v[62:63], v[52:53], v[18:19]
	v_pk_add_f32 v[30:31], v[54:55], v[30:31] op_sel_hi:[0,1]
	s_waitcnt lgkmcnt(0)
	s_barrier
	v_add_u32_e32 v49, 0x12e0, v39
	v_add_u32_e32 v24, 0x2200, v39
	v_sub_u32_e32 v51, v38, v25
	v_add_u32_e32 v34, 0x29c0, v39
	v_add_u32_e32 v50, 0x1a80, v39
	v_lshl_add_u32 v48, v2, 2, 0
	ds_read_b32 v27, v39
	ds_read_b32 v8, v48
	v_add_u32_e32 v43, 0x3140, v39
	v_lshl_add_u32 v42, v60, 2, 0
	v_add_f32_e32 v53, v17, v20
	ds_read_b32 v26, v22
	ds_read_b32 v52, v51
	;; [unrolled: 1-line block ×3, first 2 shown]
	ds_read2_b32 v[64:65], v49 offset0:7 offset1:250
	ds_read2_b32 v[18:19], v24 offset0:11 offset1:254
	;; [unrolled: 1-line block ×5, first 2 shown]
	s_waitcnt lgkmcnt(0)
	s_barrier
	ds_write2_b32 v70, v62, v63 offset1:1
	ds_write2_b32 v70, v30, v31 offset0:2 offset1:3
	ds_write_b32 v70, v53 offset:16
	v_mov_b32_e32 v31, v10
	v_pk_add_f32 v[30:31], v[30:31], v[12:13] neg_lo:[0,1] neg_hi:[0,1]
	v_mov_b32_e32 v12, v13
	v_mov_b32_e32 v30, v13
	;; [unrolled: 1-line block ×3, first 2 shown]
	v_pk_add_f32 v[30:31], v[30:31], v[32:33]
	v_mov_b32_e32 v54, v15
	v_pk_mul_f32 v[32:33], v[44:45], s[0:1]
	v_pk_add_f32 v[12:13], v[12:13], v[10:11] neg_lo:[0,1] neg_hi:[0,1]
	v_sub_f32_e32 v15, v72, v32
	v_add_f32_e32 v32, v32, v72
	v_add_f32_e32 v10, v13, v12
	v_pk_add_f32 v[44:45], v[54:55], v[30:31]
	v_pk_mul_f32 v[30:31], v[30:31], s[2:3]
	v_add_f32_e32 v53, v33, v32
	v_sub_f32_e32 v33, v15, v33
	v_pk_mul_f32 v[12:13], v[46:47], s[0:1]
	v_mul_f32_e32 v10, 0x3e9e377a, v10
	v_mov_b32_e32 v32, v11
	v_mov_b32_e32 v45, v31
	;; [unrolled: 1-line block ×3, first 2 shown]
	v_sub_f32_e32 v15, v73, v12
	v_add_f32_e32 v12, v12, v73
	v_pk_add_f32 v[32:33], v[32:33], v[44:45]
	v_pk_add_f32 v[44:45], v[10:11], v[4:5] neg_lo:[0,1] neg_hi:[0,1]
	v_add_f32_e32 v46, v13, v12
	v_add_f32_e32 v12, v31, v53
	v_mov_b32_e32 v30, v5
	v_mov_b32_e32 v31, v9
	v_pk_add_f32 v[10:11], v[10:11], v[28:29] op_sel_hi:[0,1]
	v_mov_b32_e32 v44, v5
	v_pk_add_f32 v[30:31], v[30:31], v[6:7] neg_lo:[0,1] neg_hi:[0,1]
	ds_write2_b32 v38, v32, v33 offset1:1
	ds_write2_b32 v38, v10, v11 offset0:2 offset1:3
	ds_write_b32 v38, v12 offset:16
	v_pk_add_f32 v[10:11], v[44:45], v[40:41]
	v_mov_b32_e32 v54, v9
	v_add_f32_e32 v4, v31, v30
	v_pk_add_f32 v[28:29], v[54:55], v[10:11]
	v_pk_mul_f32 v[10:11], v[10:11], s[2:3]
	v_sub_f32_e32 v13, v15, v13
	v_mul_f32_e32 v4, 0x3e9e377a, v4
	v_mov_b32_e32 v29, v11
	v_mov_b32_e32 v12, v7
	v_pk_add_f32 v[6:7], v[12:13], v[28:29]
	v_pk_add_f32 v[4:5], v[4:5], v[36:37] op_sel_hi:[0,1]
	s_movk_i32 s0, 0xcd
	v_add_f32_e32 v9, v11, v46
	ds_write2_b32 v23, v6, v7 offset1:1
	ds_write2_b32 v23, v4, v5 offset0:2 offset1:3
	ds_write_b32 v23, v9 offset:16
	v_mul_lo_u16_sdwa v4, v58, s0 dst_sel:DWORD dst_unused:UNUSED_PAD src0_sel:BYTE_0 src1_sel:DWORD
	v_lshrrev_b16_e32 v4, 10, v4
	v_mul_lo_u16_e32 v5, 5, v4
	v_sub_u16_e32 v9, v58, v5
	v_mov_b32_e32 v5, 4
	v_lshlrev_b32_sdwa v6, v5, v9 dst_sel:DWORD dst_unused:UNUSED_PAD src0_sel:DWORD src1_sel:BYTE_0
	s_mov_b32 s0, 0xcccd
	s_waitcnt lgkmcnt(0)
	s_barrier
	global_load_dwordx4 v[10:13], v6, s[4:5]
	v_mul_u32_u24_sdwa v6, v59, s0 dst_sel:DWORD dst_unused:UNUSED_PAD src0_sel:WORD_0 src1_sel:DWORD
	v_lshrrev_b32_e32 v15, 18, v6
	v_mul_lo_u16_e32 v6, 5, v15
	v_sub_u16_e32 v40, v59, v6
	v_lshlrev_b32_e32 v6, 4, v40
	global_load_dwordx4 v[28:31], v6, s[4:5]
	v_mul_u32_u24_sdwa v6, v3, s0 dst_sel:DWORD dst_unused:UNUSED_PAD src0_sel:WORD_0 src1_sel:DWORD
	v_lshrrev_b32_e32 v41, 18, v6
	v_mul_lo_u16_e32 v6, 5, v41
	v_sub_u16_e32 v53, v3, v6
	v_lshlrev_b32_e32 v6, 4, v53
	global_load_dwordx4 v[44:47], v6, s[4:5]
	ds_read2_b32 v[6:7], v49 offset0:7 offset1:250
	ds_read2_b32 v[32:33], v24 offset0:11 offset1:254
	;; [unrolled: 1-line block ×3, first 2 shown]
	s_mov_b32 s2, 0x5040100
	s_movk_i32 s3, 0x12fc
	s_waitcnt vmcnt(2)
	v_mul_f32_e32 v55, v64, v11
	s_waitcnt lgkmcnt(2)
	v_mul_f32_e32 v54, v6, v11
	v_fmac_f32_e32 v55, v6, v10
	s_waitcnt lgkmcnt(1)
	v_mul_f32_e32 v6, v33, v13
	v_fma_f32 v56, v19, v12, -v6
	v_mul_f32_e32 v19, v19, v13
	s_waitcnt vmcnt(1)
	v_mul_f32_e32 v6, v7, v29
	v_fmac_f32_e32 v19, v33, v12
	v_fma_f32 v33, v65, v28, -v6
	s_waitcnt lgkmcnt(0)
	v_mul_f32_e32 v6, v36, v31
	v_fma_f32 v61, v66, v30, -v6
	v_mul_u32_u24_sdwa v6, v2, s0 dst_sel:DWORD dst_unused:UNUSED_PAD src0_sel:WORD_0 src1_sel:DWORD
	v_lshrrev_b32_e32 v63, 18, v6
	v_mul_lo_u16_e32 v6, 5, v63
	v_fma_f32 v54, v64, v10, -v54
	v_sub_u16_e32 v64, v2, v6
	v_mul_f32_e32 v57, v65, v29
	v_lshlrev_b32_e32 v6, 4, v64
	v_fmac_f32_e32 v57, v7, v28
	global_load_dwordx4 v[10:13], v6, s[4:5]
	ds_read2_b32 v[6:7], v50 offset0:5 offset1:248
	s_waitcnt vmcnt(1)
	v_mul_f32_e32 v28, v37, v47
	v_fma_f32 v65, v67, v46, -v28
	v_mul_f32_e32 v47, v67, v47
	v_fmac_f32_e32 v47, v37, v46
	s_waitcnt lgkmcnt(0)
	v_mul_f32_e32 v28, v6, v45
	v_fma_f32 v46, v20, v44, -v28
	v_mul_f32_e32 v20, v20, v45
	v_fmac_f32_e32 v20, v6, v44
	v_mul_u32_u24_sdwa v6, v60, s0 dst_sel:DWORD dst_unused:UNUSED_PAD src0_sel:WORD_0 src1_sel:DWORD
	v_lshrrev_b32_e32 v6, 18, v6
	v_mul_lo_u16_e32 v28, 5, v6
	v_sub_u16_e32 v44, v60, v28
	v_mul_f32_e32 v62, v66, v31
	v_lshlrev_b32_e32 v28, 4, v44
	v_fmac_f32_e32 v62, v36, v30
	global_load_dwordx4 v[28:31], v28, s[4:5]
	ds_read2_b32 v[36:37], v43 offset0:7 offset1:250
	v_mul_u32_u24_e32 v6, 60, v6
	s_movk_i32 s0, 0x89
	s_waitcnt vmcnt(1)
	v_mul_f32_e32 v45, v7, v11
	v_mul_f32_e32 v11, v21, v11
	v_fmac_f32_e32 v11, v7, v10
	s_waitcnt lgkmcnt(0)
	v_mul_f32_e32 v7, v36, v13
	v_fma_f32 v45, v21, v10, -v45
	v_fma_f32 v7, v16, v12, -v7
	v_mul_f32_e32 v10, v16, v13
	v_fmac_f32_e32 v10, v36, v12
	v_add_f32_e32 v21, v54, v56
	s_waitcnt vmcnt(0)
	v_mul_f32_e32 v16, v37, v31
	v_mul_f32_e32 v12, v32, v29
	;; [unrolled: 1-line block ×3, first 2 shown]
	v_fma_f32 v16, v17, v30, -v16
	v_mul_f32_e32 v17, v17, v31
	v_fma_f32 v12, v18, v28, -v12
	v_fmac_f32_e32 v13, v32, v28
	v_fmac_f32_e32 v17, v37, v30
	v_add_f32_e32 v18, v27, v54
	v_fmac_f32_e32 v27, -0.5, v21
	v_sub_f32_e32 v21, v55, v19
	ds_read_b32 v32, v39
	ds_read_b32 v36, v48
	;; [unrolled: 1-line block ×5, first 2 shown]
	v_fmamk_f32 v28, v21, 0x3f5db3d7, v27
	v_fmac_f32_e32 v27, 0xbf5db3d7, v21
	s_waitcnt lgkmcnt(4)
	v_add_f32_e32 v21, v32, v55
	v_add_f32_e32 v68, v21, v19
	v_add_f32_e32 v19, v55, v19
	v_fmac_f32_e32 v32, -0.5, v19
	v_sub_f32_e32 v19, v54, v56
	v_add_f32_e32 v21, v33, v61
	v_fmamk_f32 v54, v19, 0xbf5db3d7, v32
	v_fmac_f32_e32 v32, 0x3f5db3d7, v19
	v_add_f32_e32 v19, v52, v33
	v_fmac_f32_e32 v52, -0.5, v21
	v_sub_f32_e32 v21, v57, v62
	v_fmamk_f32 v29, v21, 0x3f5db3d7, v52
	v_fmac_f32_e32 v52, 0xbf5db3d7, v21
	s_waitcnt lgkmcnt(0)
	v_add_f32_e32 v21, v67, v57
	v_add_f32_e32 v55, v21, v62
	;; [unrolled: 1-line block ×3, first 2 shown]
	v_fmac_f32_e32 v67, -0.5, v21
	v_sub_f32_e32 v21, v33, v61
	v_add_f32_e32 v30, v46, v65
	v_fmamk_f32 v33, v21, 0xbf5db3d7, v67
	v_fmac_f32_e32 v67, 0x3f5db3d7, v21
	v_add_f32_e32 v21, v26, v46
	v_fmac_f32_e32 v26, -0.5, v30
	v_sub_f32_e32 v30, v20, v47
	v_fmamk_f32 v31, v30, 0x3f5db3d7, v26
	v_fmac_f32_e32 v26, 0xbf5db3d7, v30
	v_add_f32_e32 v30, v66, v20
	v_add_f32_e32 v20, v20, v47
	;; [unrolled: 1-line block ×4, first 2 shown]
	v_fmac_f32_e32 v66, -0.5, v20
	v_add_f32_e32 v20, v21, v65
	v_sub_f32_e32 v21, v46, v65
	v_add_f32_e32 v30, v45, v7
	v_fmamk_f32 v46, v21, 0xbf5db3d7, v66
	v_fmac_f32_e32 v66, 0x3f5db3d7, v21
	v_add_f32_e32 v21, v8, v45
	v_fmac_f32_e32 v8, -0.5, v30
	v_sub_f32_e32 v30, v11, v10
	v_fmamk_f32 v47, v30, 0x3f5db3d7, v8
	v_fmac_f32_e32 v8, 0xbf5db3d7, v30
	v_add_f32_e32 v30, v36, v11
	v_add_f32_e32 v57, v30, v10
	v_add_f32_e32 v10, v11, v10
	v_fmac_f32_e32 v36, -0.5, v10
	v_add_f32_e32 v10, v21, v7
	v_sub_f32_e32 v7, v45, v7
	v_add_f32_e32 v21, v12, v16
	v_fmamk_f32 v11, v7, 0xbf5db3d7, v36
	v_fmac_f32_e32 v36, 0x3f5db3d7, v7
	v_add_f32_e32 v7, v14, v12
	v_fmac_f32_e32 v14, -0.5, v21
	v_sub_f32_e32 v21, v13, v17
	v_fmamk_f32 v30, v21, 0x3f5db3d7, v14
	v_fmac_f32_e32 v14, 0xbf5db3d7, v21
	v_add_f32_e32 v21, v37, v13
	v_add_f32_e32 v13, v13, v17
	v_fmac_f32_e32 v37, -0.5, v13
	v_sub_f32_e32 v12, v12, v16
	v_fmamk_f32 v13, v12, 0xbf5db3d7, v37
	v_fmac_f32_e32 v37, 0x3f5db3d7, v12
	v_mul_u32_u24_e32 v12, 60, v4
	v_mov_b32_e32 v4, 2
	v_lshlrev_b32_sdwa v9, v4, v9 dst_sel:DWORD dst_unused:UNUSED_PAD src0_sel:DWORD src1_sel:BYTE_0
	v_add3_u32 v9, 0, v12, v9
	v_mul_u32_u24_e32 v12, 60, v15
	v_lshlrev_b32_e32 v15, 2, v40
	v_add3_u32 v12, 0, v12, v15
	v_perm_b32 v15, v41, v63, s2
	v_pk_mul_lo_u16 v15, v15, 60 op_sel_hi:[1,0]
	v_add_f32_e32 v45, v21, v17
	v_add_f32_e32 v7, v7, v16
	v_lshrrev_b32_e32 v16, 16, v15
	v_lshlrev_b32_e32 v17, 2, v53
	v_add3_u32 v16, 0, v16, v17
	v_and_b32_e32 v15, 0xfffc, v15
	v_lshlrev_b32_e32 v17, 2, v64
	v_add_f32_e32 v19, v19, v61
	v_add3_u32 v15, 0, v15, v17
	s_barrier
	ds_write2_b32 v9, v18, v28 offset1:5
	ds_write_b32 v9, v27 offset:40
	ds_write2_b32 v12, v19, v29 offset1:5
	ds_write_b32 v12, v52 offset:40
	;; [unrolled: 2-line block ×4, first 2 shown]
	v_lshlrev_b32_e32 v8, 2, v44
	v_add3_u32 v6, 0, v6, v8
	ds_write2_b32 v6, v7, v30 offset1:5
	ds_write_b32 v6, v14 offset:40
	s_waitcnt lgkmcnt(0)
	s_barrier
	ds_read2_b32 v[18:19], v49 offset0:7 offset1:250
	ds_read2_b32 v[20:21], v24 offset0:11 offset1:254
	;; [unrolled: 1-line block ×4, first 2 shown]
	ds_read_b32 v44, v39
	ds_read_b32 v47, v48
	ds_read2_b32 v[30:31], v43 offset0:7 offset1:250
	ds_read_b32 v52, v22
	ds_read_b32 v53, v51
	ds_read_b32 v61, v42
	s_waitcnt lgkmcnt(0)
	s_barrier
	ds_write2_b32 v9, v68, v54 offset1:5
	ds_write_b32 v9, v32 offset:40
	ds_write2_b32 v12, v55, v33 offset1:5
	ds_write_b32 v12, v67 offset:40
	;; [unrolled: 2-line block ×5, first 2 shown]
	v_mul_lo_u16_sdwa v6, v58, s0 dst_sel:DWORD dst_unused:UNUSED_PAD src0_sel:BYTE_0 src1_sel:DWORD
	v_lshrrev_b16_e32 v45, 11, v6
	s_mov_b32 s0, 0x8889
	v_mul_lo_u16_e32 v6, 15, v45
	v_mul_u32_u24_sdwa v10, v59, s0 dst_sel:DWORD dst_unused:UNUSED_PAD src0_sel:WORD_0 src1_sel:DWORD
	v_sub_u16_e32 v46, v58, v6
	v_lshrrev_b32_e32 v54, 19, v10
	v_lshlrev_b32_sdwa v6, v5, v46 dst_sel:DWORD dst_unused:UNUSED_PAD src0_sel:DWORD src1_sel:BYTE_0
	v_mul_lo_u16_e32 v10, 15, v54
	s_waitcnt lgkmcnt(0)
	s_barrier
	global_load_dwordx4 v[6:9], v6, s[4:5] offset:80
	v_sub_u16_e32 v55, v59, v10
	v_lshlrev_b32_e32 v10, 4, v55
	global_load_dwordx4 v[10:13], v10, s[4:5] offset:80
	v_mul_u32_u24_sdwa v14, v3, s0 dst_sel:DWORD dst_unused:UNUSED_PAD src0_sel:WORD_0 src1_sel:DWORD
	v_lshrrev_b32_e32 v56, 19, v14
	v_mul_lo_u16_e32 v14, 15, v56
	v_sub_u16_e32 v57, v3, v14
	v_lshlrev_b32_e32 v14, 4, v57
	global_load_dwordx4 v[14:17], v14, s[4:5] offset:80
	ds_read2_b32 v[32:33], v49 offset0:7 offset1:250
	ds_read2_b32 v[36:37], v24 offset0:11 offset1:254
	;; [unrolled: 1-line block ×3, first 2 shown]
	s_waitcnt vmcnt(2) lgkmcnt(2)
	v_mul_f32_e32 v62, v32, v7
	v_mul_f32_e32 v63, v18, v7
	v_fma_f32 v62, v18, v6, -v62
	v_fmac_f32_e32 v63, v32, v6
	s_waitcnt lgkmcnt(1)
	v_mul_f32_e32 v6, v37, v9
	v_fma_f32 v32, v21, v8, -v6
	v_mul_f32_e32 v21, v21, v9
	s_waitcnt vmcnt(1)
	v_mul_f32_e32 v6, v33, v11
	v_fmac_f32_e32 v21, v37, v8
	v_fma_f32 v37, v19, v10, -v6
	v_mul_f32_e32 v64, v19, v11
	s_waitcnt lgkmcnt(0)
	v_mul_f32_e32 v6, v40, v13
	v_fmac_f32_e32 v64, v33, v10
	v_fma_f32 v33, v26, v12, -v6
	v_mul_f32_e32 v26, v26, v13
	v_mul_u32_u24_sdwa v6, v2, s0 dst_sel:DWORD dst_unused:UNUSED_PAD src0_sel:WORD_0 src1_sel:DWORD
	v_fmac_f32_e32 v26, v40, v12
	v_lshrrev_b32_e32 v40, 19, v6
	ds_read2_b32 v[18:19], v50 offset0:5 offset1:248
	v_mul_lo_u16_e32 v6, 15, v40
	v_sub_u16_e32 v65, v2, v6
	v_lshlrev_b32_e32 v6, 4, v65
	global_load_dwordx4 v[6:9], v6, s[4:5] offset:80
	s_waitcnt vmcnt(1)
	v_mul_f32_e32 v10, v41, v17
	v_fma_f32 v66, v27, v16, -v10
	v_mul_f32_e32 v17, v27, v17
	s_waitcnt lgkmcnt(0)
	v_mul_f32_e32 v10, v18, v15
	v_fmac_f32_e32 v17, v41, v16
	v_fma_f32 v16, v28, v14, -v10
	v_mul_f32_e32 v27, v28, v15
	v_mul_u32_u24_sdwa v10, v60, s0 dst_sel:DWORD dst_unused:UNUSED_PAD src0_sel:WORD_0 src1_sel:DWORD
	v_fmac_f32_e32 v27, v18, v14
	v_lshrrev_b32_e32 v18, 19, v10
	v_mul_lo_u16_e32 v10, 15, v18
	v_sub_u16_e32 v28, v60, v10
	v_lshlrev_b32_e32 v10, 4, v28
	global_load_dwordx4 v[10:13], v10, s[4:5] offset:80
	s_movk_i32 s0, 0xb4
	s_waitcnt vmcnt(1)
	v_mul_f32_e32 v14, v19, v7
	v_fma_f32 v41, v29, v6, -v14
	ds_read2_b32 v[14:15], v43 offset0:7 offset1:250
	v_mul_f32_e32 v7, v29, v7
	v_fmac_f32_e32 v7, v19, v6
	s_waitcnt lgkmcnt(0)
	v_mul_f32_e32 v6, v14, v9
	v_mul_f32_e32 v9, v30, v9
	v_fma_f32 v6, v30, v8, -v6
	v_fmac_f32_e32 v9, v14, v8
	v_add_f32_e32 v14, v62, v32
	s_waitcnt vmcnt(0)
	v_mul_f32_e32 v8, v36, v11
	v_mul_f32_e32 v11, v20, v11
	v_fma_f32 v8, v20, v10, -v8
	v_fmac_f32_e32 v11, v36, v10
	v_mul_f32_e32 v10, v15, v13
	v_mul_f32_e32 v13, v31, v13
	v_fma_f32 v10, v31, v12, -v10
	v_fmac_f32_e32 v13, v15, v12
	v_add_f32_e32 v12, v44, v62
	v_fmac_f32_e32 v44, -0.5, v14
	v_sub_f32_e32 v14, v63, v21
	v_fmamk_f32 v15, v14, 0x3f5db3d7, v44
	v_fmac_f32_e32 v44, 0xbf5db3d7, v14
	ds_read_b32 v14, v39
	ds_read_b32 v36, v48
	;; [unrolled: 1-line block ×5, first 2 shown]
	s_waitcnt lgkmcnt(4)
	v_add_f32_e32 v19, v14, v63
	v_add_f32_e32 v70, v19, v21
	;; [unrolled: 1-line block ×3, first 2 shown]
	v_fmac_f32_e32 v14, -0.5, v19
	v_sub_f32_e32 v19, v62, v32
	v_add_f32_e32 v20, v37, v33
	v_add_f32_e32 v12, v12, v32
	v_fmamk_f32 v32, v19, 0xbf5db3d7, v14
	v_fmac_f32_e32 v14, 0x3f5db3d7, v19
	v_add_f32_e32 v19, v53, v37
	v_fmac_f32_e32 v53, -0.5, v20
	v_sub_f32_e32 v20, v64, v26
	v_fmamk_f32 v21, v20, 0x3f5db3d7, v53
	v_fmac_f32_e32 v53, 0xbf5db3d7, v20
	s_waitcnt lgkmcnt(0)
	v_add_f32_e32 v20, v69, v64
	v_add_f32_e32 v62, v20, v26
	;; [unrolled: 1-line block ×3, first 2 shown]
	v_fmac_f32_e32 v69, -0.5, v20
	v_sub_f32_e32 v20, v37, v33
	v_add_f32_e32 v26, v16, v66
	v_add_f32_e32 v19, v19, v33
	v_fmamk_f32 v33, v20, 0xbf5db3d7, v69
	v_fmac_f32_e32 v69, 0x3f5db3d7, v20
	v_add_f32_e32 v20, v52, v16
	v_fmac_f32_e32 v52, -0.5, v26
	v_sub_f32_e32 v26, v27, v17
	v_fmamk_f32 v29, v26, 0x3f5db3d7, v52
	v_fmac_f32_e32 v52, 0xbf5db3d7, v26
	v_add_f32_e32 v26, v68, v27
	v_add_f32_e32 v37, v26, v17
	;; [unrolled: 1-line block ×3, first 2 shown]
	v_fmac_f32_e32 v68, -0.5, v17
	v_add_f32_e32 v17, v20, v66
	v_sub_f32_e32 v16, v16, v66
	v_add_f32_e32 v20, v41, v6
	v_fmamk_f32 v63, v16, 0xbf5db3d7, v68
	v_fmac_f32_e32 v68, 0x3f5db3d7, v16
	v_add_f32_e32 v16, v47, v41
	v_fmac_f32_e32 v47, -0.5, v20
	v_sub_f32_e32 v20, v7, v9
	v_fmamk_f32 v26, v20, 0x3f5db3d7, v47
	v_fmac_f32_e32 v47, 0xbf5db3d7, v20
	v_add_f32_e32 v20, v36, v7
	v_add_f32_e32 v7, v7, v9
	v_fmac_f32_e32 v36, -0.5, v7
	v_add_f32_e32 v7, v16, v6
	v_sub_f32_e32 v6, v41, v6
	v_add_f32_e32 v16, v8, v10
	v_add_f32_e32 v64, v20, v9
	v_fmamk_f32 v9, v6, 0xbf5db3d7, v36
	v_fmac_f32_e32 v36, 0x3f5db3d7, v6
	v_add_f32_e32 v6, v61, v8
	v_fmac_f32_e32 v61, -0.5, v16
	v_sub_f32_e32 v16, v11, v13
	v_fmamk_f32 v20, v16, 0x3f5db3d7, v61
	v_fmac_f32_e32 v61, 0xbf5db3d7, v16
	v_add_f32_e32 v16, v67, v11
	v_add_f32_e32 v11, v11, v13
	v_fmac_f32_e32 v67, -0.5, v11
	v_sub_f32_e32 v8, v8, v10
	v_add_f32_e32 v6, v6, v10
	v_fmamk_f32 v10, v8, 0xbf5db3d7, v67
	v_fmac_f32_e32 v67, 0x3f5db3d7, v8
	v_mul_u32_u24_e32 v8, 0xb4, v45
	v_lshlrev_b32_sdwa v11, v4, v46 dst_sel:DWORD dst_unused:UNUSED_PAD src0_sel:DWORD src1_sel:BYTE_0
	v_add3_u32 v8, 0, v8, v11
	v_perm_b32 v11, v56, v54, s2
	v_pk_mul_lo_u16 v11, v11, s0 op_sel_hi:[1,0]
	v_add_f32_e32 v16, v16, v13
	s_barrier
	ds_write2_b32 v8, v12, v15 offset1:15
	ds_write_b32 v8, v44 offset:120
	v_and_b32_e32 v12, 0xfffc, v11
	v_lshlrev_b32_e32 v13, 2, v55
	v_add3_u32 v12, 0, v12, v13
	v_lshrrev_b32_e32 v11, 16, v11
	v_lshlrev_b32_e32 v13, 2, v57
	v_add3_u32 v11, 0, v11, v13
	v_mul_u32_u24_e32 v13, 0xb4, v40
	v_lshlrev_b32_e32 v15, 2, v65
	v_add3_u32 v13, 0, v13, v15
	ds_write2_b32 v12, v19, v21 offset1:15
	ds_write_b32 v12, v53 offset:120
	ds_write2_b32 v11, v17, v29 offset1:15
	ds_write_b32 v11, v52 offset:120
	;; [unrolled: 2-line block ×3, first 2 shown]
	v_mul_u32_u24_e32 v7, 0xb4, v18
	v_lshlrev_b32_e32 v15, 2, v28
	v_add3_u32 v7, 0, v7, v15
	s_movk_i32 s0, 0x6d
	ds_write2_b32 v7, v6, v20 offset1:15
	ds_write_b32 v7, v61 offset:120
	v_mul_lo_u16_sdwa v6, v58, s0 dst_sel:DWORD dst_unused:UNUSED_PAD src0_sel:BYTE_0 src1_sel:DWORD
	s_waitcnt lgkmcnt(0)
	s_barrier
	ds_read2_b32 v[18:19], v49 offset0:7 offset1:250
	ds_read2_b32 v[20:21], v24 offset0:11 offset1:254
	;; [unrolled: 1-line block ×4, first 2 shown]
	ds_read_b32 v44, v39
	ds_read_b32 v45, v48
	ds_read2_b32 v[30:31], v43 offset0:7 offset1:250
	ds_read_b32 v46, v22
	ds_read_b32 v47, v51
	;; [unrolled: 1-line block ×3, first 2 shown]
	s_waitcnt lgkmcnt(0)
	s_barrier
	ds_write2_b32 v8, v70, v32 offset1:15
	ds_write_b32 v8, v14 offset:120
	ds_write2_b32 v12, v62, v33 offset1:15
	ds_write_b32 v12, v69 offset:120
	;; [unrolled: 2-line block ×5, first 2 shown]
	v_sub_u16_sdwa v7, v58, v6 dst_sel:DWORD dst_unused:UNUSED_PAD src0_sel:DWORD src1_sel:BYTE_1
	v_lshrrev_b16_e32 v7, 1, v7
	v_and_b32_e32 v7, 0x7f, v7
	s_movk_i32 s0, 0x2d83
	v_add_u16_sdwa v6, v7, v6 dst_sel:DWORD dst_unused:UNUSED_PAD src0_sel:DWORD src1_sel:BYTE_1
	v_mul_u32_u24_sdwa v14, v3, s0 dst_sel:DWORD dst_unused:UNUSED_PAD src0_sel:WORD_0 src1_sel:DWORD
	v_lshrrev_b16_e32 v53, 5, v6
	v_lshrrev_b32_e32 v56, 19, v14
	v_mul_lo_u16_e32 v6, 45, v53
	v_mul_lo_u16_e32 v14, 45, v56
	v_sub_u16_e32 v54, v58, v6
	v_sub_u16_e32 v57, v3, v14
	v_lshlrev_b32_sdwa v5, v5, v54 dst_sel:DWORD dst_unused:UNUSED_PAD src0_sel:DWORD src1_sel:BYTE_0
	v_lshlrev_b32_e32 v14, 4, v57
	s_waitcnt lgkmcnt(0)
	s_barrier
	global_load_dwordx4 v[6:9], v5, s[4:5] offset:320
	v_lshlrev_b32_sdwa v4, v4, v54 dst_sel:DWORD dst_unused:UNUSED_PAD src0_sel:DWORD src1_sel:BYTE_0
	global_load_dwordx4 v[14:17], v14, s[4:5] offset:320
	v_mul_u32_u24_sdwa v5, v59, s0 dst_sel:DWORD dst_unused:UNUSED_PAD src0_sel:WORD_0 src1_sel:DWORD
	v_lshrrev_b32_e32 v5, 19, v5
	v_mul_lo_u16_e32 v10, 45, v5
	v_sub_u16_e32 v55, v59, v10
	v_lshlrev_b32_e32 v10, 4, v55
	global_load_dwordx4 v[10:13], v10, s[4:5] offset:320
	ds_read2_b32 v[32:33], v49 offset0:7 offset1:250
	ds_read2_b32 v[36:37], v24 offset0:11 offset1:254
	;; [unrolled: 1-line block ×3, first 2 shown]
	v_mul_u32_u24_e32 v5, 0x21c, v5
	s_waitcnt vmcnt(2) lgkmcnt(2)
	v_mul_f32_e32 v61, v32, v7
	v_mul_f32_e32 v62, v18, v7
	v_fma_f32 v61, v18, v6, -v61
	v_fmac_f32_e32 v62, v32, v6
	s_waitcnt lgkmcnt(1)
	v_mul_f32_e32 v6, v37, v9
	v_fma_f32 v32, v21, v8, -v6
	v_mul_f32_e32 v21, v21, v9
	v_fmac_f32_e32 v21, v37, v8
	s_waitcnt vmcnt(0)
	v_mul_f32_e32 v6, v33, v11
	v_fma_f32 v37, v19, v10, -v6
	v_mul_f32_e32 v63, v19, v11
	ds_read2_b32 v[18:19], v50 offset0:5 offset1:248
	s_waitcnt lgkmcnt(1)
	v_mul_f32_e32 v6, v40, v13
	v_fmac_f32_e32 v63, v33, v10
	v_fma_f32 v33, v26, v12, -v6
	v_mul_f32_e32 v26, v26, v13
	v_mul_u32_u24_sdwa v6, v2, s0 dst_sel:DWORD dst_unused:UNUSED_PAD src0_sel:WORD_0 src1_sel:DWORD
	v_mul_f32_e32 v10, v41, v17
	v_fmac_f32_e32 v26, v40, v12
	v_lshrrev_b32_e32 v40, 19, v6
	v_fma_f32 v65, v27, v16, -v10
	v_mul_f32_e32 v17, v27, v17
	s_waitcnt lgkmcnt(0)
	v_mul_f32_e32 v10, v18, v15
	v_mul_lo_u16_e32 v6, 45, v40
	v_fmac_f32_e32 v17, v41, v16
	v_fma_f32 v16, v28, v14, -v10
	v_mul_f32_e32 v27, v28, v15
	v_mul_u32_u24_sdwa v10, v60, s0 dst_sel:DWORD dst_unused:UNUSED_PAD src0_sel:WORD_0 src1_sel:DWORD
	v_sub_u16_e32 v64, v2, v6
	v_fmac_f32_e32 v27, v18, v14
	v_lshrrev_b32_e32 v18, 19, v10
	v_lshlrev_b32_e32 v6, 4, v64
	v_mul_lo_u16_e32 v10, 45, v18
	global_load_dwordx4 v[6:9], v6, s[4:5] offset:320
	v_sub_u16_e32 v28, v60, v10
	v_lshlrev_b32_e32 v10, 4, v28
	global_load_dwordx4 v[10:13], v10, s[4:5] offset:320
	ds_read2_b32 v[14:15], v43 offset0:7 offset1:250
	s_movk_i32 s0, 0x21c
	s_waitcnt vmcnt(1)
	v_mul_f32_e32 v41, v19, v7
	v_mul_f32_e32 v7, v29, v7
	v_fma_f32 v41, v29, v6, -v41
	v_fmac_f32_e32 v7, v19, v6
	s_waitcnt lgkmcnt(0)
	v_mul_f32_e32 v6, v14, v9
	v_mul_f32_e32 v9, v30, v9
	v_fma_f32 v6, v30, v8, -v6
	v_fmac_f32_e32 v9, v14, v8
	s_waitcnt vmcnt(0)
	v_mul_f32_e32 v8, v36, v11
	v_mul_f32_e32 v11, v20, v11
	v_fma_f32 v8, v20, v10, -v8
	v_fmac_f32_e32 v11, v36, v10
	v_mul_f32_e32 v10, v15, v13
	v_mul_f32_e32 v13, v31, v13
	v_add_f32_e32 v14, v61, v32
	v_fma_f32 v10, v31, v12, -v10
	v_fmac_f32_e32 v13, v15, v12
	v_add_f32_e32 v12, v44, v61
	v_fmac_f32_e32 v44, -0.5, v14
	v_sub_f32_e32 v14, v62, v21
	v_fmamk_f32 v15, v14, 0x3f5db3d7, v44
	v_fmac_f32_e32 v44, 0xbf5db3d7, v14
	ds_read_b32 v14, v39
	ds_read_b32 v36, v48
	;; [unrolled: 1-line block ×5, first 2 shown]
	s_waitcnt lgkmcnt(4)
	v_add_f32_e32 v19, v14, v62
	v_add_f32_e32 v69, v19, v21
	;; [unrolled: 1-line block ×3, first 2 shown]
	v_fmac_f32_e32 v14, -0.5, v19
	v_sub_f32_e32 v19, v61, v32
	v_add_f32_e32 v20, v37, v33
	v_add_f32_e32 v12, v12, v32
	v_fmamk_f32 v32, v19, 0xbf5db3d7, v14
	v_fmac_f32_e32 v14, 0x3f5db3d7, v19
	v_add_f32_e32 v19, v47, v37
	v_fmac_f32_e32 v47, -0.5, v20
	v_sub_f32_e32 v20, v63, v26
	v_fmamk_f32 v21, v20, 0x3f5db3d7, v47
	v_fmac_f32_e32 v47, 0xbf5db3d7, v20
	s_waitcnt lgkmcnt(0)
	v_add_f32_e32 v20, v68, v63
	v_add_f32_e32 v61, v20, v26
	v_add_f32_e32 v20, v63, v26
	v_fmac_f32_e32 v68, -0.5, v20
	v_sub_f32_e32 v20, v37, v33
	v_add_f32_e32 v26, v16, v65
	v_add_f32_e32 v19, v19, v33
	v_fmamk_f32 v33, v20, 0xbf5db3d7, v68
	v_fmac_f32_e32 v68, 0x3f5db3d7, v20
	v_add_f32_e32 v20, v46, v16
	v_fmac_f32_e32 v46, -0.5, v26
	v_sub_f32_e32 v26, v27, v17
	v_fmamk_f32 v29, v26, 0x3f5db3d7, v46
	v_fmac_f32_e32 v46, 0xbf5db3d7, v26
	v_add_f32_e32 v26, v67, v27
	v_add_f32_e32 v37, v26, v17
	;; [unrolled: 1-line block ×3, first 2 shown]
	v_fmac_f32_e32 v67, -0.5, v17
	v_add_f32_e32 v17, v20, v65
	v_sub_f32_e32 v16, v16, v65
	v_add_f32_e32 v20, v41, v6
	v_fmamk_f32 v62, v16, 0xbf5db3d7, v67
	v_fmac_f32_e32 v67, 0x3f5db3d7, v16
	v_add_f32_e32 v16, v45, v41
	v_fmac_f32_e32 v45, -0.5, v20
	v_sub_f32_e32 v20, v7, v9
	v_fmamk_f32 v26, v20, 0x3f5db3d7, v45
	v_fmac_f32_e32 v45, 0xbf5db3d7, v20
	v_add_f32_e32 v20, v36, v7
	v_add_f32_e32 v7, v7, v9
	v_fmac_f32_e32 v36, -0.5, v7
	v_add_f32_e32 v7, v16, v6
	v_sub_f32_e32 v6, v41, v6
	v_add_f32_e32 v16, v8, v10
	v_add_f32_e32 v63, v20, v9
	v_fmamk_f32 v9, v6, 0xbf5db3d7, v36
	v_fmac_f32_e32 v36, 0x3f5db3d7, v6
	v_add_f32_e32 v6, v52, v8
	v_fmac_f32_e32 v52, -0.5, v16
	v_sub_f32_e32 v16, v11, v13
	v_fmamk_f32 v20, v16, 0x3f5db3d7, v52
	v_fmac_f32_e32 v52, 0xbf5db3d7, v16
	v_add_f32_e32 v16, v66, v11
	v_add_f32_e32 v11, v11, v13
	v_fmac_f32_e32 v66, -0.5, v11
	v_sub_f32_e32 v8, v8, v10
	v_add_f32_e32 v6, v6, v10
	v_fmamk_f32 v10, v8, 0xbf5db3d7, v66
	v_fmac_f32_e32 v66, 0x3f5db3d7, v8
	v_mul_u32_u24_e32 v8, 0x21c, v53
	v_add3_u32 v4, 0, v8, v4
	v_lshlrev_b32_e32 v8, 2, v55
	v_add3_u32 v5, 0, v5, v8
	v_perm_b32 v8, v56, v40, s2
	v_pk_mul_lo_u16 v8, v8, s0 op_sel_hi:[1,0]
	s_barrier
	ds_write2_b32 v4, v12, v15 offset1:45
	ds_write_b32 v4, v44 offset:360
	v_lshrrev_b32_e32 v11, 16, v8
	v_lshlrev_b32_e32 v12, 2, v57
	v_add3_u32 v11, 0, v11, v12
	v_and_b32_e32 v8, 0xfffc, v8
	v_lshlrev_b32_e32 v12, 2, v64
	v_add3_u32 v8, 0, v8, v12
	ds_write2_b32 v5, v19, v21 offset1:45
	ds_write_b32 v5, v47 offset:360
	ds_write2_b32 v11, v17, v29 offset1:45
	ds_write_b32 v11, v46 offset:360
	;; [unrolled: 2-line block ×3, first 2 shown]
	v_mul_u32_u24_e32 v7, 0x21c, v18
	v_lshlrev_b32_e32 v12, 2, v28
	v_add3_u32 v7, 0, v7, v12
	s_movk_i32 s0, 0x87
	v_add_f32_e32 v16, v16, v13
	ds_write2_b32 v7, v6, v20 offset1:45
	ds_write_b32 v7, v52 offset:360
	s_waitcnt lgkmcnt(0)
	s_barrier
	ds_read2_b32 v[18:19], v49 offset0:7 offset1:250
	ds_read2_b32 v[20:21], v24 offset0:11 offset1:254
	;; [unrolled: 1-line block ×4, first 2 shown]
	ds_read_b32 v44, v39
	ds_read_b32 v45, v48
	ds_read2_b32 v[30:31], v43 offset0:7 offset1:250
	ds_read_b32 v46, v22
	ds_read_b32 v47, v51
	;; [unrolled: 1-line block ×3, first 2 shown]
	s_waitcnt lgkmcnt(0)
	s_barrier
	ds_write2_b32 v4, v69, v32 offset1:45
	ds_write_b32 v4, v14 offset:360
	ds_write2_b32 v5, v61, v33 offset1:45
	ds_write_b32 v5, v68 offset:360
	;; [unrolled: 2-line block ×5, first 2 shown]
	v_add_u32_e32 v4, 0xffffff79, v58
	v_cmp_gt_u32_e64 s[0:1], s0, v58
	v_mov_b32_e32 v5, 0
	s_waitcnt lgkmcnt(0)
	v_cndmask_b32_e64 v53, v4, v58, s[0:1]
	v_lshlrev_b32_e32 v4, 1, v53
	s_movk_i32 s0, 0x795d
	v_lshl_add_u64 v[6:7], v[4:5], 3, s[4:5]
	v_mul_u32_u24_sdwa v4, v59, s0 dst_sel:DWORD dst_unused:UNUSED_PAD src0_sel:WORD_0 src1_sel:DWORD
	v_lshrrev_b32_e32 v4, 22, v4
	v_mul_lo_u16_e32 v10, 0x87, v4
	s_barrier
	global_load_dwordx4 v[6:9], v[6:7], off offset:1040
	v_sub_u16_e32 v54, v59, v10
	v_lshlrev_b32_e32 v10, 4, v54
	global_load_dwordx4 v[10:13], v10, s[4:5] offset:1040
	v_mul_u32_u24_sdwa v14, v3, s0 dst_sel:DWORD dst_unused:UNUSED_PAD src0_sel:WORD_0 src1_sel:DWORD
	v_lshrrev_b32_e32 v55, 22, v14
	v_mul_lo_u16_e32 v14, 0x87, v55
	v_sub_u16_e32 v56, v3, v14
	v_lshlrev_b32_e32 v14, 4, v56
	global_load_dwordx4 v[14:17], v14, s[4:5] offset:1040
	ds_read2_b32 v[32:33], v49 offset0:7 offset1:250
	ds_read2_b32 v[36:37], v24 offset0:11 offset1:254
	;; [unrolled: 1-line block ×3, first 2 shown]
	v_perm_b32 v4, v55, v4, s2
	s_mov_b32 s2, 0x3f5db3d7
	s_waitcnt vmcnt(2) lgkmcnt(2)
	v_mul_f32_e32 v57, v32, v7
	v_mul_f32_e32 v61, v18, v7
	v_fma_f32 v57, v18, v6, -v57
	v_fmac_f32_e32 v61, v32, v6
	s_waitcnt lgkmcnt(1)
	v_mul_f32_e32 v6, v37, v9
	v_fma_f32 v32, v21, v8, -v6
	v_mul_f32_e32 v21, v21, v9
	s_waitcnt vmcnt(1)
	v_mul_f32_e32 v6, v33, v11
	v_fmac_f32_e32 v21, v37, v8
	v_fma_f32 v37, v19, v10, -v6
	v_mul_f32_e32 v62, v19, v11
	ds_read2_b32 v[18:19], v50 offset0:5 offset1:248
	s_waitcnt lgkmcnt(1)
	v_mul_f32_e32 v6, v40, v13
	v_fmac_f32_e32 v62, v33, v10
	v_fma_f32 v33, v26, v12, -v6
	v_mul_f32_e32 v26, v26, v13
	v_mul_u32_u24_sdwa v6, v2, s0 dst_sel:DWORD dst_unused:UNUSED_PAD src0_sel:WORD_0 src1_sel:DWORD
	s_waitcnt vmcnt(0)
	v_mul_f32_e32 v10, v41, v17
	v_fmac_f32_e32 v26, v40, v12
	v_lshrrev_b32_e32 v40, 22, v6
	v_fma_f32 v64, v27, v16, -v10
	v_mul_f32_e32 v17, v27, v17
	s_waitcnt lgkmcnt(0)
	v_mul_f32_e32 v10, v18, v15
	v_mul_lo_u16_e32 v6, 0x87, v40
	v_fmac_f32_e32 v17, v41, v16
	v_fma_f32 v16, v28, v14, -v10
	v_mul_f32_e32 v27, v28, v15
	v_mul_u32_u24_sdwa v10, v60, s0 dst_sel:DWORD dst_unused:UNUSED_PAD src0_sel:WORD_0 src1_sel:DWORD
	v_sub_u16_e32 v63, v2, v6
	v_fmac_f32_e32 v27, v18, v14
	v_lshrrev_b32_e32 v18, 22, v10
	v_lshlrev_b32_e32 v6, 4, v63
	v_mul_lo_u16_e32 v10, 0x87, v18
	global_load_dwordx4 v[6:9], v6, s[4:5] offset:1040
	v_sub_u16_e32 v28, v60, v10
	v_lshlrev_b32_e32 v10, 4, v28
	global_load_dwordx4 v[10:13], v10, s[4:5] offset:1040
	ds_read2_b32 v[14:15], v43 offset0:7 offset1:250
	s_movk_i32 s0, 0x86
	v_cmp_lt_u32_e64 s[0:1], s0, v58
	s_waitcnt vmcnt(1)
	v_mul_f32_e32 v41, v19, v7
	v_mul_f32_e32 v7, v29, v7
	v_fma_f32 v41, v29, v6, -v41
	v_fmac_f32_e32 v7, v19, v6
	s_waitcnt lgkmcnt(0)
	v_mul_f32_e32 v6, v14, v9
	v_mul_f32_e32 v9, v30, v9
	v_fma_f32 v6, v30, v8, -v6
	v_fmac_f32_e32 v9, v14, v8
	s_waitcnt vmcnt(0)
	v_mul_f32_e32 v8, v36, v11
	v_mul_f32_e32 v11, v20, v11
	v_fma_f32 v8, v20, v10, -v8
	v_fmac_f32_e32 v11, v36, v10
	v_mul_f32_e32 v10, v15, v13
	v_mul_f32_e32 v13, v31, v13
	v_add_f32_e32 v14, v57, v32
	v_fma_f32 v10, v31, v12, -v10
	v_fmac_f32_e32 v13, v15, v12
	v_add_f32_e32 v12, v44, v57
	v_fmac_f32_e32 v44, -0.5, v14
	v_sub_f32_e32 v14, v61, v21
	ds_read_b32 v19, v39
	ds_read_b32 v20, v48
	;; [unrolled: 1-line block ×5, first 2 shown]
	v_fmamk_f32 v15, v14, 0x3f5db3d7, v44
	v_fmac_f32_e32 v44, 0xbf5db3d7, v14
	s_waitcnt lgkmcnt(4)
	v_add_f32_e32 v14, v19, v61
	v_add_f32_e32 v67, v14, v21
	;; [unrolled: 1-line block ×3, first 2 shown]
	v_fmac_f32_e32 v19, -0.5, v14
	v_sub_f32_e32 v14, v57, v32
	v_add_f32_e32 v30, v37, v33
	v_fmamk_f32 v21, v14, 0xbf5db3d7, v19
	v_fmac_f32_e32 v19, 0x3f5db3d7, v14
	v_add_f32_e32 v14, v47, v37
	v_fmac_f32_e32 v47, -0.5, v30
	v_sub_f32_e32 v30, v62, v26
	v_fmamk_f32 v31, v30, 0x3f5db3d7, v47
	v_fmac_f32_e32 v47, 0xbf5db3d7, v30
	s_waitcnt lgkmcnt(0)
	v_add_f32_e32 v30, v66, v62
	v_add_f32_e32 v57, v30, v26
	;; [unrolled: 1-line block ×3, first 2 shown]
	v_fmac_f32_e32 v66, -0.5, v26
	v_sub_f32_e32 v26, v37, v33
	v_add_f32_e32 v30, v16, v64
	v_fmamk_f32 v61, v26, 0xbf5db3d7, v66
	v_fmac_f32_e32 v66, 0x3f5db3d7, v26
	v_add_f32_e32 v26, v46, v16
	v_fmac_f32_e32 v46, -0.5, v30
	v_sub_f32_e32 v30, v27, v17
	v_add_f32_e32 v12, v12, v32
	v_fmamk_f32 v32, v30, 0x3f5db3d7, v46
	v_fmac_f32_e32 v46, 0xbf5db3d7, v30
	v_add_f32_e32 v30, v65, v27
	v_add_f32_e32 v62, v30, v17
	;; [unrolled: 1-line block ×3, first 2 shown]
	v_fmac_f32_e32 v65, -0.5, v17
	v_sub_f32_e32 v16, v16, v64
	v_add_f32_e32 v27, v41, v6
	v_add_f32_e32 v17, v26, v64
	v_fmamk_f32 v26, v16, 0xbf5db3d7, v65
	v_fmac_f32_e32 v65, 0x3f5db3d7, v16
	v_add_f32_e32 v16, v45, v41
	v_fmac_f32_e32 v45, -0.5, v27
	v_sub_f32_e32 v27, v7, v9
	v_fmamk_f32 v30, v27, 0x3f5db3d7, v45
	v_fmac_f32_e32 v45, 0xbf5db3d7, v27
	v_add_f32_e32 v27, v20, v7
	v_add_f32_e32 v7, v7, v9
	v_fmac_f32_e32 v20, -0.5, v7
	v_add_f32_e32 v7, v16, v6
	v_sub_f32_e32 v6, v41, v6
	v_add_f32_e32 v16, v8, v10
	v_add_f32_e32 v27, v27, v9
	v_fmamk_f32 v9, v6, 0xbf5db3d7, v20
	v_fmac_f32_e32 v20, 0x3f5db3d7, v6
	v_add_f32_e32 v6, v52, v8
	v_fmac_f32_e32 v52, -0.5, v16
	v_sub_f32_e32 v16, v11, v13
	v_add_f32_e32 v14, v14, v33
	v_fmamk_f32 v33, v16, 0x3f5db3d7, v52
	v_fmac_f32_e32 v52, 0xbf5db3d7, v16
	v_add_f32_e32 v16, v29, v11
	v_add_f32_e32 v11, v11, v13
	v_fmac_f32_e32 v29, -0.5, v11
	v_sub_f32_e32 v8, v8, v10
	v_add_f32_e32 v6, v6, v10
	v_fmamk_f32 v10, v8, 0xbf5db3d7, v29
	v_fmac_f32_e32 v29, 0x3f5db3d7, v8
	v_mov_b32_e32 v8, 0x654
	v_cndmask_b32_e64 v8, 0, v8, s[0:1]
	v_lshlrev_b32_e32 v11, 2, v53
	s_movk_i32 s0, 0x654
	v_add3_u32 v8, 0, v8, v11
	v_pk_mul_lo_u16 v4, v4, s0 op_sel_hi:[1,0]
	s_barrier
	ds_write2_b32 v8, v12, v15 offset1:135
	ds_write_b32 v8, v44 offset:1080
	v_and_b32_e32 v11, 0xfffc, v4
	v_lshlrev_b32_e32 v12, 2, v54
	v_add3_u32 v11, 0, v11, v12
	v_lshrrev_b32_e32 v4, 16, v4
	v_lshlrev_b32_e32 v12, 2, v56
	v_add_f32_e32 v16, v16, v13
	v_add3_u32 v4, 0, v4, v12
	v_mul_u32_u24_e32 v12, 0x654, v40
	v_lshlrev_b32_e32 v13, 2, v63
	v_add3_u32 v12, 0, v12, v13
	ds_write2_b32 v11, v14, v31 offset1:135
	ds_write_b32 v11, v47 offset:1080
	ds_write2_b32 v4, v17, v32 offset1:135
	ds_write_b32 v4, v46 offset:1080
	;; [unrolled: 2-line block ×3, first 2 shown]
	v_mul_u32_u24_e32 v7, 0x654, v18
	v_lshlrev_b32_e32 v13, 2, v28
	v_add3_u32 v7, 0, v7, v13
	ds_write2_b32 v7, v6, v33 offset1:135
	ds_write_b32 v7, v52 offset:1080
	s_waitcnt lgkmcnt(0)
	s_barrier
	ds_read2_b32 v[14:15], v49 offset0:7 offset1:250
	ds_read2_b32 v[30:31], v24 offset0:11 offset1:254
	;; [unrolled: 1-line block ×4, first 2 shown]
	ds_read_b32 v52, v39
	ds_read_b32 v53, v48
	ds_read2_b32 v[40:41], v43 offset0:7 offset1:250
	ds_read_b32 v54, v22
	ds_read_b32 v55, v51
	;; [unrolled: 1-line block ×3, first 2 shown]
	s_waitcnt lgkmcnt(0)
	s_barrier
	ds_write2_b32 v8, v67, v21 offset1:135
	ds_write_b32 v8, v19 offset:1080
	ds_write2_b32 v11, v57, v61 offset1:135
	ds_write_b32 v11, v66 offset:1080
	;; [unrolled: 2-line block ×5, first 2 shown]
	v_lshlrev_b32_e32 v4, 1, v58
	v_lshl_add_u64 v[16:17], v[4:5], 3, s[4:5]
	s_waitcnt lgkmcnt(0)
	s_barrier
	global_load_dwordx4 v[6:9], v[16:17], off offset:3200
	s_movk_i32 s0, 0xa2
	v_add_u32_e32 v10, 0xffffff5e, v58
	v_cmp_gt_u32_e64 s[0:1], s0, v58
	v_mov_b32_e32 v11, v5
	ds_read2_b32 v[44:45], v49 offset0:7 offset1:250
	v_cndmask_b32_e64 v57, v10, v59, s[0:1]
	v_lshlrev_b32_e32 v10, 1, v57
	v_lshl_add_u64 v[10:11], v[10:11], 3, s[4:5]
	global_load_dwordx4 v[10:13], v[10:11], off offset:3200
	ds_read2_b32 v[46:47], v24 offset0:11 offset1:254
	v_add_u32_e32 v4, 0xa2, v4
	v_lshl_add_u64 v[18:19], v[4:5], 3, s[4:5]
	s_movk_i32 s0, 0x43a3
	global_load_dwordx4 v[18:21], v[18:19], off offset:3200
	s_movk_i32 s1, 0x195
	s_waitcnt vmcnt(2) lgkmcnt(1)
	v_mul_f32_e32 v4, v44, v7
	v_mul_f32_e32 v61, v14, v7
	v_fma_f32 v4, v14, v6, -v4
	v_fmac_f32_e32 v61, v44, v6
	s_waitcnt lgkmcnt(0)
	v_mul_f32_e32 v6, v47, v9
	v_fma_f32 v44, v31, v8, -v6
	v_mul_u32_u24_sdwa v6, v2, s0 dst_sel:DWORD dst_unused:UNUSED_PAD src0_sel:WORD_0 src1_sel:DWORD
	v_sub_u16_sdwa v7, v2, v6 dst_sel:DWORD dst_unused:UNUSED_PAD src0_sel:DWORD src1_sel:WORD_1
	v_mul_f32_e32 v31, v31, v9
	v_lshrrev_b16_e32 v7, 1, v7
	v_mul_u32_u24_sdwa v14, v60, s0 dst_sel:DWORD dst_unused:UNUSED_PAD src0_sel:WORD_0 src1_sel:DWORD
	v_fmac_f32_e32 v31, v47, v8
	v_add_u16_sdwa v47, v7, v6 dst_sel:DWORD dst_unused:UNUSED_PAD src0_sel:DWORD src1_sel:WORD_1
	v_sub_u16_sdwa v26, v60, v14 dst_sel:DWORD dst_unused:UNUSED_PAD src0_sel:DWORD src1_sel:WORD_1
	v_mul_lo_u16_sdwa v6, v47, s1 dst_sel:DWORD dst_unused:UNUSED_PAD src0_sel:BYTE_1 src1_sel:DWORD
	v_lshrrev_b16_e32 v26, 1, v26
	v_sub_u16_e32 v62, v2, v6
	v_add_u16_sdwa v14, v26, v14 dst_sel:DWORD dst_unused:UNUSED_PAD src0_sel:DWORD src1_sel:WORD_1
	v_lshlrev_b32_e32 v6, 4, v62
	v_mul_lo_u16_sdwa v14, v14, s1 dst_sel:DWORD dst_unused:UNUSED_PAD src0_sel:BYTE_1 src1_sel:DWORD
	global_load_dwordx4 v[6:9], v6, s[4:5] offset:3200
	v_sub_u16_e32 v63, v60, v14
	v_lshlrev_b32_e32 v14, 4, v63
	global_load_dwordx4 v[26:29], v14, s[4:5] offset:3200
	s_waitcnt vmcnt(3)
	v_mul_f32_e32 v14, v45, v11
	v_fma_f32 v64, v15, v10, -v14
	v_mul_f32_e32 v65, v15, v11
	ds_read2_b32 v[14:15], v34 offset0:1 offset1:244
	v_fmac_f32_e32 v65, v45, v10
	s_movk_i32 s0, 0xa1
	v_cmp_lt_u32_e64 s[0:1], s0, v58
	s_waitcnt lgkmcnt(0)
	v_mul_f32_e32 v10, v14, v13
	v_fma_f32 v45, v32, v12, -v10
	ds_read2_b32 v[10:11], v50 offset0:5 offset1:248
	v_mul_f32_e32 v32, v32, v13
	v_fmac_f32_e32 v32, v14, v12
	s_waitcnt vmcnt(2) lgkmcnt(0)
	v_mul_f32_e32 v12, v10, v19
	v_fma_f32 v14, v36, v18, -v12
	v_mul_f32_e32 v12, v15, v21
	v_fma_f32 v66, v33, v20, -v12
	ds_read2_b32 v[12:13], v43 offset0:7 offset1:250
	v_mul_f32_e32 v19, v36, v19
	v_fmac_f32_e32 v19, v10, v18
	v_mul_f32_e32 v21, v33, v21
	v_fmac_f32_e32 v21, v15, v20
	v_add_f32_e32 v20, v52, v4
	v_add_f32_e32 v20, v20, v44
	s_waitcnt vmcnt(1)
	v_mul_f32_e32 v10, v11, v7
	v_mul_f32_e32 v7, v37, v7
	v_fma_f32 v10, v37, v6, -v10
	v_fmac_f32_e32 v7, v11, v6
	s_waitcnt lgkmcnt(0)
	v_mul_f32_e32 v6, v12, v9
	v_mul_f32_e32 v9, v40, v9
	v_fma_f32 v6, v40, v8, -v6
	v_fmac_f32_e32 v9, v12, v8
	s_waitcnt vmcnt(0)
	v_mul_f32_e32 v8, v46, v27
	v_mul_f32_e32 v15, v41, v29
	v_fma_f32 v8, v30, v26, -v8
	v_mul_f32_e32 v11, v30, v27
	v_mul_f32_e32 v12, v13, v29
	ds_read_b32 v18, v51
	ds_read_b32 v29, v22
	v_fmac_f32_e32 v15, v13, v28
	ds_read_b32 v13, v39
	ds_read_b32 v30, v48
	;; [unrolled: 1-line block ×3, first 2 shown]
	v_fmac_f32_e32 v11, v46, v26
	v_add_f32_e32 v26, v4, v44
	v_fmac_f32_e32 v52, -0.5, v26
	v_sub_f32_e32 v26, v61, v31
	v_fmamk_f32 v27, v26, 0x3f5db3d7, v52
	v_fmac_f32_e32 v52, 0xbf5db3d7, v26
	s_waitcnt lgkmcnt(2)
	v_add_f32_e32 v26, v13, v61
	v_add_f32_e32 v36, v26, v31
	v_add_f32_e32 v26, v61, v31
	v_fmac_f32_e32 v13, -0.5, v26
	v_sub_f32_e32 v4, v4, v44
	v_add_f32_e32 v26, v64, v45
	v_fmamk_f32 v31, v4, 0xbf5db3d7, v13
	v_fmac_f32_e32 v13, 0x3f5db3d7, v4
	v_add_f32_e32 v4, v55, v64
	v_fmac_f32_e32 v55, -0.5, v26
	v_sub_f32_e32 v26, v65, v32
	v_fma_f32 v12, v41, v28, -v12
	v_fmamk_f32 v28, v26, 0x3f5db3d7, v55
	v_fmac_f32_e32 v55, 0xbf5db3d7, v26
	v_add_f32_e32 v26, v18, v65
	v_add_f32_e32 v37, v26, v32
	;; [unrolled: 1-line block ×3, first 2 shown]
	v_fmac_f32_e32 v18, -0.5, v26
	v_sub_f32_e32 v26, v64, v45
	v_add_f32_e32 v32, v14, v66
	v_fmamk_f32 v40, v26, 0xbf5db3d7, v18
	v_fmac_f32_e32 v18, 0x3f5db3d7, v26
	v_add_f32_e32 v26, v54, v14
	v_fmac_f32_e32 v54, -0.5, v32
	v_sub_f32_e32 v32, v19, v21
	v_fmamk_f32 v41, v32, 0x3f5db3d7, v54
	v_fmac_f32_e32 v54, 0xbf5db3d7, v32
	v_add_f32_e32 v32, v29, v19
	v_add_f32_e32 v19, v19, v21
	;; [unrolled: 1-line block ×3, first 2 shown]
	v_fmac_f32_e32 v29, -0.5, v19
	v_sub_f32_e32 v14, v14, v66
	v_add_f32_e32 v21, v10, v6
	v_fmamk_f32 v19, v14, 0xbf5db3d7, v29
	v_fmac_f32_e32 v29, 0x3f5db3d7, v14
	v_add_f32_e32 v14, v53, v10
	v_fmac_f32_e32 v53, -0.5, v21
	v_sub_f32_e32 v21, v7, v9
	v_fmamk_f32 v32, v21, 0x3f5db3d7, v53
	v_fmac_f32_e32 v53, 0xbf5db3d7, v21
	s_waitcnt lgkmcnt(1)
	v_add_f32_e32 v21, v30, v7
	v_add_f32_e32 v7, v7, v9
	v_add_f32_e32 v14, v14, v6
	v_fmac_f32_e32 v30, -0.5, v7
	v_sub_f32_e32 v6, v10, v6
	v_add_f32_e32 v7, v8, v12
	v_fmamk_f32 v46, v6, 0xbf5db3d7, v30
	v_fmac_f32_e32 v30, 0x3f5db3d7, v6
	v_add_f32_e32 v6, v56, v8
	v_fmac_f32_e32 v56, -0.5, v7
	v_sub_f32_e32 v7, v11, v15
	v_add_f32_e32 v4, v4, v45
	v_add_f32_e32 v45, v21, v9
	v_fmamk_f32 v9, v7, 0x3f5db3d7, v56
	v_fmac_f32_e32 v56, 0xbf5db3d7, v7
	s_waitcnt lgkmcnt(0)
	v_add_f32_e32 v7, v33, v11
	v_add_f32_e32 v61, v7, v15
	;; [unrolled: 1-line block ×3, first 2 shown]
	v_fmac_f32_e32 v33, -0.5, v7
	v_sub_f32_e32 v7, v8, v12
	v_fmamk_f32 v11, v7, 0xbf5db3d7, v33
	v_fmac_f32_e32 v33, 0x3f5db3d7, v7
	v_mov_b32_e32 v7, 0x12fc
	v_cndmask_b32_e64 v7, 0, v7, s[0:1]
	v_lshlrev_b32_e32 v8, 2, v57
	s_barrier
	ds_write_b32 v39, v20
	ds_write_b32 v39, v27 offset:1620
	ds_write_b32 v39, v52 offset:3240
	v_add3_u32 v52, 0, v7, v8
	v_add_f32_e32 v26, v26, v66
	ds_write_b32 v52, v4
	ds_write_b32 v52, v28 offset:1620
	ds_write_b32 v52, v55 offset:3240
	v_lshl_add_u32 v4, v58, 2, 0
	v_mul_u32_u24_sdwa v7, v47, s3 dst_sel:DWORD dst_unused:UNUSED_PAD src0_sel:BYTE_1 src1_sel:DWORD
	v_lshlrev_b32_e32 v8, 2, v62
	v_add_f32_e32 v6, v6, v12
	ds_write_b32 v4, v26 offset:5184
	ds_write_b32 v4, v41 offset:6804
	;; [unrolled: 1-line block ×3, first 2 shown]
	v_add3_u32 v41, 0, v7, v8
	v_lshl_add_u32 v47, v63, 2, 0
	ds_write_b32 v41, v14
	ds_write_b32 v41, v32 offset:1620
	ds_write_b32 v41, v53 offset:3240
	;; [unrolled: 1-line block ×5, first 2 shown]
	s_waitcnt lgkmcnt(0)
	s_barrier
	ds_read2_b32 v[26:27], v49 offset0:7 offset1:250
	ds_read2_b32 v[6:7], v24 offset0:11 offset1:254
	;; [unrolled: 1-line block ×4, first 2 shown]
	ds_read_b32 v32, v39
	ds_read_b32 v12, v48
	ds_read2_b32 v[8:9], v43 offset0:7 offset1:250
	ds_read_b32 v22, v22
	ds_read_b32 v28, v51
	;; [unrolled: 1-line block ×3, first 2 shown]
	s_waitcnt lgkmcnt(0)
	s_barrier
	ds_write_b32 v39, v36
	ds_write_b32 v39, v31 offset:1620
	ds_write_b32 v39, v13 offset:3240
	ds_write_b32 v52, v37
	ds_write_b32 v52, v40 offset:1620
	ds_write_b32 v52, v18 offset:3240
	ds_write_b32 v4, v44 offset:5184
	ds_write_b32 v4, v19 offset:6804
	ds_write_b32 v4, v29 offset:8424
	ds_write_b32 v41, v45
	ds_write_b32 v41, v46 offset:1620
	ds_write_b32 v41, v30 offset:3240
	;; [unrolled: 1-line block ×5, first 2 shown]
	s_waitcnt lgkmcnt(0)
	s_barrier
	s_and_saveexec_b64 s[0:1], vcc
	s_cbranch_execz .LBB0_15
; %bb.14:
	s_movk_i32 s1, 0x2000
	v_add_co_u32_e32 v16, vcc, s1, v16
	v_lshlrev_b32_e32 v4, 1, v60
	s_nop 0
	v_addc_co_u32_e32 v17, vcc, 0, v17, vcc
	global_load_dwordx4 v[44:47], v[16:17], off offset:1488
	v_lshl_add_u64 v[30:31], v[4:5], 3, s[4:5]
	v_lshlrev_b32_e32 v4, 1, v2
	v_lshl_add_u64 v[54:55], v[4:5], 3, s[4:5]
	v_lshlrev_b32_e32 v4, 1, v3
	;; [unrolled: 2-line block ×3, first 2 shown]
	v_lshl_add_u64 v[2:3], v[4:5], 3, s[4:5]
	v_add_co_u32_e32 v2, vcc, s1, v2
	v_sub_u32_e32 v11, 0, v25
	s_nop 0
	v_addc_co_u32_e32 v3, vcc, 0, v3, vcc
	v_sub_u32_e32 v13, 0, v35
	ds_read2_b32 v[18:19], v24 offset0:11 offset1:254
	ds_read2_b32 v[16:17], v43 offset0:7 offset1:250
	;; [unrolled: 1-line block ×5, first 2 shown]
	global_load_dwordx4 v[2:5], v[2:3], off offset:1488
	v_mad_u64_u32 v[36:37], s[6:7], s8, v58, 0
	v_add_u32_e32 v43, 0x4bf, v58
	v_add_u32_e32 v49, 0x97e, v58
	;; [unrolled: 1-line block ×4, first 2 shown]
	v_mov_b32_e32 v38, v37
	v_mad_u64_u32 v[60:61], s[4:5], s8, v43, 0
	v_mad_u64_u32 v[62:63], s[4:5], s8, v49, 0
	ds_read_b32 v29, v11
	ds_read_b32 v23, v13
	;; [unrolled: 1-line block ×5, first 2 shown]
	v_mad_u64_u32 v[38:39], s[4:5], s9, v58, v[38:39]
	v_mov_b32_e32 v42, v61
	v_mov_b32_e32 v48, v63
	;; [unrolled: 1-line block ×3, first 2 shown]
	v_mad_u64_u32 v[38:39], s[4:5], s9, v43, v[42:43]
	v_mad_u64_u32 v[42:43], s[4:5], s9, v49, v[48:49]
	v_lshl_add_u64 v[48:49], v[36:37], 3, v[0:1]
	v_add_co_u32_e32 v36, vcc, s1, v56
	v_mov_b32_e32 v61, v38
	s_nop 0
	v_addc_co_u32_e32 v37, vcc, 0, v57, vcc
	global_load_dwordx4 v[36:39], v[36:37], off offset:1488
	v_mov_b32_e32 v63, v42
	v_lshl_add_u64 v[42:43], v[60:61], 3, v[0:1]
	s_waitcnt lgkmcnt(9)
	v_mov_b32_e32 v60, v19
	v_mov_b32_e32 v50, v7
	;; [unrolled: 1-line block ×3, first 2 shown]
	v_lshl_add_u64 v[56:57], v[62:63], 3, v[0:1]
	v_add_u32_e32 v7, 0xf3, v58
	v_mad_u64_u32 v[64:65], s[4:5], s8, v7, 0
	s_movk_i32 s0, 0x97e
	s_waitcnt vmcnt(2) lgkmcnt(5)
	v_pk_mul_f32 v[62:63], v[44:45], v[40:41] op_sel_hi:[1,0]
	v_pk_mul_f32 v[60:61], v[46:47], v[60:61] op_sel_hi:[1,0]
	v_pk_fma_f32 v[66:67], v[26:27], v[44:45], v[62:63] op_sel:[0,0,1] op_sel_hi:[1,1,0] neg_lo:[0,0,1] neg_hi:[0,0,1]
	v_pk_fma_f32 v[44:45], v[26:27], v[44:45], v[62:63] op_sel:[0,0,1] op_sel_hi:[0,1,0]
	v_pk_fma_f32 v[50:51], v[50:51], v[46:47], v[60:61] op_sel:[0,0,1] op_sel_hi:[1,1,0] neg_lo:[0,0,1] neg_hi:[0,0,1]
	v_pk_fma_f32 v[46:47], v[52:53], v[46:47], v[60:61] op_sel:[0,0,1] op_sel_hi:[0,1,0]
	v_mov_b32_e32 v67, v45
	v_mov_b32_e32 v51, v47
	v_pk_add_f32 v[44:45], v[66:67], v[50:51]
	v_pk_add_f32 v[46:47], v[66:67], v[50:51] neg_lo:[0,1] neg_hi:[0,1]
	s_waitcnt lgkmcnt(0)
	v_pk_add_f32 v[52:53], v[32:33], v[66:67]
	v_pk_fma_f32 v[32:33], v[44:45], 0.5, v[32:33] op_sel_hi:[1,0,1] neg_lo:[1,0,0] neg_hi:[1,0,0]
	v_pk_mul_f32 v[44:45], v[46:47], s[2:3] op_sel_hi:[1,0]
	v_pk_add_f32 v[46:47], v[52:53], v[50:51]
	v_pk_add_f32 v[50:51], v[32:33], v[44:45] op_sel:[0,1] op_sel_hi:[1,0] neg_lo:[0,1] neg_hi:[0,1]
	v_pk_add_f32 v[32:33], v[32:33], v[44:45] op_sel:[0,1] op_sel_hi:[1,0]
	v_mov_b32_e32 v26, v65
	v_mov_b32_e32 v44, v32
	;; [unrolled: 1-line block ×4, first 2 shown]
	v_mad_u64_u32 v[32:33], s[4:5], s9, v7, v[26:27]
	v_add_u32_e32 v7, 0x5b2, v58
	global_store_dwordx2 v[48:49], v[46:47], off
	global_store_dwordx2 v[42:43], v[44:45], off
	;; [unrolled: 1-line block ×3, first 2 shown]
	v_mad_u64_u32 v[42:43], s[4:5], s8, v7, 0
	v_mov_b32_e32 v26, v43
	v_mad_u64_u32 v[44:45], s[4:5], s9, v7, v[26:27]
	v_add_u32_e32 v7, 0xa71, v58
	v_mov_b32_e32 v43, v44
	v_mad_u64_u32 v[44:45], s[4:5], s8, v7, 0
	v_mov_b32_e32 v26, v45
	v_mad_u64_u32 v[46:47], s[4:5], s9, v7, v[26:27]
	v_mov_b32_e32 v45, v46
	v_mov_b32_e32 v46, v41
	;; [unrolled: 1-line block ×4, first 2 shown]
	s_waitcnt vmcnt(4)
	v_pk_mul_f32 v[46:47], v[2:3], v[46:47] op_sel_hi:[1,0]
	v_mov_b32_e32 v65, v32
	v_pk_fma_f32 v[26:27], v[26:27], v[2:3], v[46:47] op_sel:[0,0,1] op_sel_hi:[1,1,0] neg_lo:[0,0,1] neg_hi:[0,0,1]
	v_pk_fma_f32 v[2:3], v[40:41], v[2:3], v[46:47] op_sel:[0,0,1] op_sel_hi:[0,1,0]
	v_mov_b32_e32 v27, v3
	v_pk_mul_f32 v[2:3], v[4:5], v[34:35] op_sel_hi:[1,0]
	v_lshl_add_u64 v[32:33], v[64:65], 3, v[0:1]
	v_pk_fma_f32 v[40:41], v[20:21], v[4:5], v[2:3] op_sel:[0,0,1] op_sel_hi:[1,1,0] neg_lo:[0,0,1] neg_hi:[0,0,1]
	v_pk_fma_f32 v[2:3], v[20:21], v[4:5], v[2:3] op_sel:[0,0,1] op_sel_hi:[0,1,0]
	v_mov_b32_e32 v41, v3
	v_pk_add_f32 v[2:3], v[26:27], v[40:41]
	v_pk_add_f32 v[4:5], v[26:27], v[40:41] neg_lo:[0,1] neg_hi:[0,1]
	v_pk_fma_f32 v[2:3], v[2:3], 0.5, v[28:29] op_sel_hi:[1,0,1] neg_lo:[1,0,0] neg_hi:[1,0,0]
	v_pk_mul_f32 v[4:5], v[4:5], s[2:3] op_sel_hi:[1,0]
	v_lshl_add_u64 v[42:43], v[42:43], 3, v[0:1]
	v_pk_add_f32 v[46:47], v[2:3], v[4:5] op_sel:[0,1] op_sel_hi:[1,0] neg_lo:[0,1] neg_hi:[0,1]
	v_pk_add_f32 v[2:3], v[2:3], v[4:5] op_sel:[0,1] op_sel_hi:[1,0]
	v_pk_add_f32 v[4:5], v[28:29], v[26:27]
	v_add_u32_e32 v7, 0x1e6, v58
	v_pk_add_f32 v[4:5], v[4:5], v[40:41]
	global_store_dwordx2 v[32:33], v[4:5], off
	v_mov_b32_e32 v4, v2
	v_add_co_u32_e32 v2, vcc, s1, v54
	v_mov_b32_e32 v5, v47
	v_mov_b32_e32 v47, v3
	v_addc_co_u32_e32 v3, vcc, 0, v55, vcc
	global_store_dwordx2 v[42:43], v[4:5], off
	global_load_dwordx4 v[2:5], v[2:3], off offset:1488
	v_mad_u64_u32 v[26:27], s[4:5], s8, v7, 0
	v_mov_b32_e32 v20, v27
	v_mad_u64_u32 v[28:29], s[4:5], s9, v7, v[20:21]
	v_add_u32_e32 v7, 0x6a5, v58
	v_mov_b32_e32 v27, v28
	v_mad_u64_u32 v[28:29], s[4:5], s8, v7, 0
	v_mov_b32_e32 v20, v29
	v_mad_u64_u32 v[32:33], s[4:5], s9, v7, v[20:21]
	v_add_u32_e32 v7, 0xb64, v58
	v_mov_b32_e32 v29, v32
	v_mad_u64_u32 v[32:33], s[4:5], s8, v7, 0
	v_mov_b32_e32 v20, v33
	v_mad_u64_u32 v[40:41], s[4:5], s9, v7, v[20:21]
	v_mov_b32_e32 v33, v40
	s_waitcnt vmcnt(6)
	v_pk_mul_f32 v[40:41], v[36:37], v[24:25] op_sel_hi:[1,0]
	v_mov_b32_e32 v24, v35
	v_pk_fma_f32 v[42:43], v[14:15], v[36:37], v[40:41] op_sel:[0,0,1] op_sel_hi:[1,1,0] neg_lo:[0,0,1] neg_hi:[0,0,1]
	v_pk_fma_f32 v[36:37], v[14:15], v[36:37], v[40:41] op_sel:[0,0,1] op_sel_hi:[0,1,0]
	v_mov_b32_e32 v14, v21
	v_mov_b32_e32 v20, v21
	v_pk_mul_f32 v[34:35], v[38:39], v[24:25] op_sel_hi:[1,0]
	v_mov_b32_e32 v43, v37
	v_pk_fma_f32 v[36:37], v[14:15], v[38:39], v[34:35] op_sel:[0,0,1] op_sel_hi:[1,1,0] neg_lo:[0,0,1] neg_hi:[0,0,1]
	v_pk_fma_f32 v[20:21], v[20:21], v[38:39], v[34:35] op_sel:[0,0,1] op_sel_hi:[0,1,0]
	v_mov_b32_e32 v37, v21
	v_pk_add_f32 v[20:21], v[42:43], v[36:37]
	v_pk_add_f32 v[34:35], v[42:43], v[36:37] neg_lo:[0,1] neg_hi:[0,1]
	v_pk_fma_f32 v[20:21], v[20:21], 0.5, v[22:23] op_sel_hi:[1,0,1] neg_lo:[1,0,0] neg_hi:[1,0,0]
	v_pk_mul_f32 v[34:35], v[34:35], s[2:3] op_sel_hi:[1,0]
	v_lshl_add_u64 v[44:45], v[44:45], 3, v[0:1]
	v_pk_add_f32 v[38:39], v[20:21], v[34:35] op_sel:[0,1] op_sel_hi:[1,0] neg_lo:[0,1] neg_hi:[0,1]
	v_pk_add_f32 v[34:35], v[20:21], v[34:35] op_sel:[0,1] op_sel_hi:[1,0]
	v_pk_add_f32 v[20:21], v[22:23], v[42:43]
	v_lshl_add_u64 v[26:27], v[26:27], 3, v[0:1]
	v_pk_add_f32 v[20:21], v[20:21], v[36:37]
	global_store_dwordx2 v[44:45], v[46:47], off
	v_lshl_add_u64 v[28:29], v[28:29], 3, v[0:1]
	global_store_dwordx2 v[26:27], v[20:21], off
	v_mov_b32_e32 v20, v34
	v_mov_b32_e32 v21, v39
	global_store_dwordx2 v[28:29], v[20:21], off
	v_add_co_u32_e32 v20, vcc, s1, v30
	v_add_u32_e32 v7, 0x2d9, v58
	s_nop 0
	v_addc_co_u32_e32 v21, vcc, 0, v31, vcc
	global_load_dwordx4 v[20:23], v[20:21], off offset:1488
	v_mad_u64_u32 v[26:27], s[4:5], s8, v7, 0
	v_mov_b32_e32 v14, v27
	v_mad_u64_u32 v[28:29], s[4:5], s9, v7, v[14:15]
	v_add_u32_e32 v7, 0x798, v58
	v_mov_b32_e32 v27, v28
	v_mad_u64_u32 v[28:29], s[4:5], s8, v7, 0
	v_mov_b32_e32 v14, v29
	v_mad_u64_u32 v[30:31], s[4:5], s9, v7, v[14:15]
	v_add_u32_e32 v7, 0xc57, v58
	v_mov_b32_e32 v29, v30
	v_mad_u64_u32 v[30:31], s[4:5], s8, v7, 0
	v_lshl_add_u64 v[32:33], v[32:33], 3, v[0:1]
	v_mov_b32_e32 v39, v35
	v_mov_b32_e32 v14, v31
	global_store_dwordx2 v[32:33], v[38:39], off
	v_mad_u64_u32 v[32:33], s[4:5], s9, v7, v[14:15]
	v_mov_b32_e32 v31, v32
	v_mov_b32_e32 v32, v25
	;; [unrolled: 1-line block ×4, first 2 shown]
	s_waitcnt vmcnt(5)
	v_pk_mul_f32 v[32:33], v[2:3], v[32:33] op_sel_hi:[1,0]
	v_lshl_add_u64 v[26:27], v[26:27], 3, v[0:1]
	v_pk_fma_f32 v[14:15], v[14:15], v[2:3], v[32:33] op_sel:[0,0,1] op_sel_hi:[1,1,0] neg_lo:[0,0,1] neg_hi:[0,0,1]
	v_pk_fma_f32 v[2:3], v[24:25], v[2:3], v[32:33] op_sel:[0,0,1] op_sel_hi:[0,1,0]
	v_mov_b32_e32 v15, v3
	v_pk_mul_f32 v[2:3], v[4:5], v[16:17] op_sel_hi:[1,0]
	s_mov_b32 s1, 0x1af83441
	v_pk_fma_f32 v[24:25], v[8:9], v[4:5], v[2:3] op_sel:[0,0,1] op_sel_hi:[1,1,0] neg_lo:[0,0,1] neg_hi:[0,0,1]
	v_pk_fma_f32 v[2:3], v[8:9], v[4:5], v[2:3] op_sel:[0,0,1] op_sel_hi:[0,1,0]
	v_mov_b32_e32 v25, v3
	v_pk_add_f32 v[2:3], v[14:15], v[24:25]
	v_pk_add_f32 v[4:5], v[14:15], v[24:25] neg_lo:[0,1] neg_hi:[0,1]
	v_pk_fma_f32 v[2:3], v[2:3], 0.5, v[12:13] op_sel_hi:[1,0,1] neg_lo:[1,0,0] neg_hi:[1,0,0]
	v_pk_mul_f32 v[4:5], v[4:5], s[2:3] op_sel_hi:[1,0]
	v_lshl_add_u64 v[28:29], v[28:29], 3, v[0:1]
	v_pk_add_f32 v[32:33], v[2:3], v[4:5] op_sel:[0,1] op_sel_hi:[1,0] neg_lo:[0,1] neg_hi:[0,1]
	v_pk_add_f32 v[2:3], v[2:3], v[4:5] op_sel:[0,1] op_sel_hi:[1,0]
	v_pk_add_f32 v[4:5], v[12:13], v[14:15]
	v_lshl_add_u64 v[30:31], v[30:31], 3, v[0:1]
	v_pk_add_f32 v[4:5], v[4:5], v[24:25]
	global_store_dwordx2 v[26:27], v[4:5], off
	v_mov_b32_e32 v4, v2
	v_add_u32_e32 v2, 0x3cc, v58
	v_mov_b32_e32 v5, v33
	v_mov_b32_e32 v33, v3
	v_mul_hi_u32 v3, v2, s1
	v_lshrrev_b32_e32 v3, 7, v3
	v_mad_u32_u24 v7, v3, s0, v2
	v_mad_u64_u32 v[2:3], s[0:1], s8, v7, 0
	global_store_dwordx2 v[28:29], v[4:5], off
	v_mov_b32_e32 v4, v3
	v_mad_u64_u32 v[4:5], s[0:1], s9, v7, v[4:5]
	v_add_u32_e32 v12, 0x4bf, v7
	v_mov_b32_e32 v3, v4
	v_mad_u64_u32 v[4:5], s[0:1], s8, v12, 0
	v_mov_b32_e32 v8, v5
	v_mad_u64_u32 v[12:13], s[0:1], s9, v12, v[8:9]
	v_add_u32_e32 v7, 0x97e, v7
	v_mov_b32_e32 v5, v12
	v_mad_u64_u32 v[12:13], s[0:1], s8, v7, 0
	v_mov_b32_e32 v8, v13
	v_mad_u64_u32 v[14:15], s[0:1], s9, v7, v[8:9]
	v_mov_b32_e32 v13, v14
	v_lshl_add_u64 v[2:3], v[2:3], 3, v[0:1]
	v_lshl_add_u64 v[4:5], v[4:5], 3, v[0:1]
	;; [unrolled: 1-line block ×3, first 2 shown]
	v_mov_b32_e32 v8, v9
	s_waitcnt vmcnt(3)
	v_pk_mul_f32 v[12:13], v[20:21], v[18:19] op_sel_hi:[1,0]
	global_store_dwordx2 v[30:31], v[32:33], off
	v_pk_fma_f32 v[14:15], v[6:7], v[20:21], v[12:13] op_sel:[0,0,1] op_sel_hi:[1,1,0] neg_lo:[0,0,1] neg_hi:[0,0,1]
	v_pk_fma_f32 v[6:7], v[6:7], v[20:21], v[12:13] op_sel:[0,0,1] op_sel_hi:[0,1,0]
	v_mov_b32_e32 v12, v17
	v_mov_b32_e32 v6, v9
	v_pk_mul_f32 v[12:13], v[22:23], v[12:13] op_sel_hi:[1,0]
	v_mov_b32_e32 v15, v7
	v_pk_fma_f32 v[6:7], v[6:7], v[22:23], v[12:13] op_sel:[0,0,1] op_sel_hi:[1,1,0] neg_lo:[0,0,1] neg_hi:[0,0,1]
	v_pk_fma_f32 v[8:9], v[8:9], v[22:23], v[12:13] op_sel:[0,0,1] op_sel_hi:[0,1,0]
	v_mov_b32_e32 v7, v9
	v_pk_add_f32 v[8:9], v[14:15], v[6:7]
	v_pk_add_f32 v[12:13], v[14:15], v[6:7] neg_lo:[0,1] neg_hi:[0,1]
	v_pk_fma_f32 v[8:9], v[8:9], 0.5, v[10:11] op_sel_hi:[1,0,1] neg_lo:[1,0,0] neg_hi:[1,0,0]
	v_pk_mul_f32 v[12:13], v[12:13], s[2:3] op_sel_hi:[1,0]
	v_pk_add_f32 v[10:11], v[10:11], v[14:15]
	v_pk_add_f32 v[16:17], v[8:9], v[12:13] op_sel:[0,1] op_sel_hi:[1,0] neg_lo:[0,1] neg_hi:[0,1]
	v_pk_add_f32 v[8:9], v[8:9], v[12:13] op_sel:[0,1] op_sel_hi:[1,0]
	v_pk_add_f32 v[6:7], v[10:11], v[6:7]
	global_store_dwordx2 v[2:3], v[6:7], off
	v_mov_b32_e32 v2, v8
	v_mov_b32_e32 v3, v17
	;; [unrolled: 1-line block ×3, first 2 shown]
	global_store_dwordx2 v[4:5], v[2:3], off
	global_store_dwordx2 v[0:1], v[16:17], off
.LBB0_15:
	s_endpgm
	.section	.rodata,"a",@progbits
	.p2align	6, 0x0
	.amdhsa_kernel fft_rtc_fwd_len3645_factors_5_3_3_3_3_3_3_wgs_243_tpt_243_halfLds_sp_ip_CI_sbrr_dirReg
		.amdhsa_group_segment_fixed_size 0
		.amdhsa_private_segment_fixed_size 0
		.amdhsa_kernarg_size 88
		.amdhsa_user_sgpr_count 2
		.amdhsa_user_sgpr_dispatch_ptr 0
		.amdhsa_user_sgpr_queue_ptr 0
		.amdhsa_user_sgpr_kernarg_segment_ptr 1
		.amdhsa_user_sgpr_dispatch_id 0
		.amdhsa_user_sgpr_kernarg_preload_length 0
		.amdhsa_user_sgpr_kernarg_preload_offset 0
		.amdhsa_user_sgpr_private_segment_size 0
		.amdhsa_uses_dynamic_stack 0
		.amdhsa_enable_private_segment 0
		.amdhsa_system_sgpr_workgroup_id_x 1
		.amdhsa_system_sgpr_workgroup_id_y 0
		.amdhsa_system_sgpr_workgroup_id_z 0
		.amdhsa_system_sgpr_workgroup_info 0
		.amdhsa_system_vgpr_workitem_id 0
		.amdhsa_next_free_vgpr 74
		.amdhsa_next_free_sgpr 24
		.amdhsa_accum_offset 76
		.amdhsa_reserve_vcc 1
		.amdhsa_float_round_mode_32 0
		.amdhsa_float_round_mode_16_64 0
		.amdhsa_float_denorm_mode_32 3
		.amdhsa_float_denorm_mode_16_64 3
		.amdhsa_dx10_clamp 1
		.amdhsa_ieee_mode 1
		.amdhsa_fp16_overflow 0
		.amdhsa_tg_split 0
		.amdhsa_exception_fp_ieee_invalid_op 0
		.amdhsa_exception_fp_denorm_src 0
		.amdhsa_exception_fp_ieee_div_zero 0
		.amdhsa_exception_fp_ieee_overflow 0
		.amdhsa_exception_fp_ieee_underflow 0
		.amdhsa_exception_fp_ieee_inexact 0
		.amdhsa_exception_int_div_zero 0
	.end_amdhsa_kernel
	.text
.Lfunc_end0:
	.size	fft_rtc_fwd_len3645_factors_5_3_3_3_3_3_3_wgs_243_tpt_243_halfLds_sp_ip_CI_sbrr_dirReg, .Lfunc_end0-fft_rtc_fwd_len3645_factors_5_3_3_3_3_3_3_wgs_243_tpt_243_halfLds_sp_ip_CI_sbrr_dirReg
                                        ; -- End function
	.section	.AMDGPU.csdata,"",@progbits
; Kernel info:
; codeLenInByte = 11996
; NumSgprs: 30
; NumVgprs: 74
; NumAgprs: 0
; TotalNumVgprs: 74
; ScratchSize: 0
; MemoryBound: 0
; FloatMode: 240
; IeeeMode: 1
; LDSByteSize: 0 bytes/workgroup (compile time only)
; SGPRBlocks: 3
; VGPRBlocks: 9
; NumSGPRsForWavesPerEU: 30
; NumVGPRsForWavesPerEU: 74
; AccumOffset: 76
; Occupancy: 6
; WaveLimiterHint : 1
; COMPUTE_PGM_RSRC2:SCRATCH_EN: 0
; COMPUTE_PGM_RSRC2:USER_SGPR: 2
; COMPUTE_PGM_RSRC2:TRAP_HANDLER: 0
; COMPUTE_PGM_RSRC2:TGID_X_EN: 1
; COMPUTE_PGM_RSRC2:TGID_Y_EN: 0
; COMPUTE_PGM_RSRC2:TGID_Z_EN: 0
; COMPUTE_PGM_RSRC2:TIDIG_COMP_CNT: 0
; COMPUTE_PGM_RSRC3_GFX90A:ACCUM_OFFSET: 18
; COMPUTE_PGM_RSRC3_GFX90A:TG_SPLIT: 0
	.text
	.p2alignl 6, 3212836864
	.fill 256, 4, 3212836864
	.type	__hip_cuid_1d57e509cc5ed6bb,@object ; @__hip_cuid_1d57e509cc5ed6bb
	.section	.bss,"aw",@nobits
	.globl	__hip_cuid_1d57e509cc5ed6bb
__hip_cuid_1d57e509cc5ed6bb:
	.byte	0                               ; 0x0
	.size	__hip_cuid_1d57e509cc5ed6bb, 1

	.ident	"AMD clang version 19.0.0git (https://github.com/RadeonOpenCompute/llvm-project roc-6.4.0 25133 c7fe45cf4b819c5991fe208aaa96edf142730f1d)"
	.section	".note.GNU-stack","",@progbits
	.addrsig
	.addrsig_sym __hip_cuid_1d57e509cc5ed6bb
	.amdgpu_metadata
---
amdhsa.kernels:
  - .agpr_count:     0
    .args:
      - .actual_access:  read_only
        .address_space:  global
        .offset:         0
        .size:           8
        .value_kind:     global_buffer
      - .offset:         8
        .size:           8
        .value_kind:     by_value
      - .actual_access:  read_only
        .address_space:  global
        .offset:         16
        .size:           8
        .value_kind:     global_buffer
      - .actual_access:  read_only
        .address_space:  global
        .offset:         24
        .size:           8
        .value_kind:     global_buffer
      - .offset:         32
        .size:           8
        .value_kind:     by_value
      - .actual_access:  read_only
        .address_space:  global
        .offset:         40
        .size:           8
        .value_kind:     global_buffer
      - .actual_access:  read_only
        .address_space:  global
        .offset:         48
        .size:           8
        .value_kind:     global_buffer
      - .offset:         56
        .size:           4
        .value_kind:     by_value
      - .actual_access:  read_only
        .address_space:  global
        .offset:         64
        .size:           8
        .value_kind:     global_buffer
      - .actual_access:  read_only
        .address_space:  global
        .offset:         72
        .size:           8
        .value_kind:     global_buffer
      - .address_space:  global
        .offset:         80
        .size:           8
        .value_kind:     global_buffer
    .group_segment_fixed_size: 0
    .kernarg_segment_align: 8
    .kernarg_segment_size: 88
    .language:       OpenCL C
    .language_version:
      - 2
      - 0
    .max_flat_workgroup_size: 243
    .name:           fft_rtc_fwd_len3645_factors_5_3_3_3_3_3_3_wgs_243_tpt_243_halfLds_sp_ip_CI_sbrr_dirReg
    .private_segment_fixed_size: 0
    .sgpr_count:     30
    .sgpr_spill_count: 0
    .symbol:         fft_rtc_fwd_len3645_factors_5_3_3_3_3_3_3_wgs_243_tpt_243_halfLds_sp_ip_CI_sbrr_dirReg.kd
    .uniform_work_group_size: 1
    .uses_dynamic_stack: false
    .vgpr_count:     74
    .vgpr_spill_count: 0
    .wavefront_size: 64
amdhsa.target:   amdgcn-amd-amdhsa--gfx950
amdhsa.version:
  - 1
  - 2
...

	.end_amdgpu_metadata
